;; amdgpu-corpus repo=ROCm/rocFFT kind=compiled arch=gfx906 opt=O3
	.text
	.amdgcn_target "amdgcn-amd-amdhsa--gfx906"
	.amdhsa_code_object_version 6
	.protected	bluestein_single_fwd_len520_dim1_dp_op_CI_CI ; -- Begin function bluestein_single_fwd_len520_dim1_dp_op_CI_CI
	.globl	bluestein_single_fwd_len520_dim1_dp_op_CI_CI
	.p2align	8
	.type	bluestein_single_fwd_len520_dim1_dp_op_CI_CI,@function
bluestein_single_fwd_len520_dim1_dp_op_CI_CI: ; @bluestein_single_fwd_len520_dim1_dp_op_CI_CI
; %bb.0:
	s_mov_b64 s[50:51], s[2:3]
	s_mov_b64 s[48:49], s[0:1]
	s_load_dwordx4 s[0:3], s[4:5], 0x28
	v_mul_u32_u24_e32 v1, 0x4ed, v0
	v_add_u32_sdwa v197, s6, v1 dst_sel:DWORD dst_unused:UNUSED_PAD src0_sel:DWORD src1_sel:WORD_1
	v_mov_b32_e32 v198, 0
	s_add_u32 s48, s48, s7
	s_waitcnt lgkmcnt(0)
	v_cmp_gt_u64_e32 vcc, s[0:1], v[197:198]
	s_addc_u32 s49, s49, 0
	s_and_saveexec_b64 s[0:1], vcc
	s_cbranch_execz .LBB0_23
; %bb.1:
	s_load_dwordx2 s[14:15], s[4:5], 0x0
	s_load_dwordx2 s[12:13], s[4:5], 0x38
	v_mov_b32_e32 v2, 52
	v_mul_lo_u16_sdwa v1, v1, v2 dst_sel:DWORD dst_unused:UNUSED_PAD src0_sel:WORD_1 src1_sel:DWORD
	v_sub_u16_e32 v136, v0, v1
	v_cmp_gt_u16_e32 vcc, 40, v136
	v_lshlrev_b32_e32 v239, 4, v136
	s_and_saveexec_b64 s[6:7], vcc
	s_cbranch_execz .LBB0_3
; %bb.2:
	s_load_dwordx2 s[0:1], s[4:5], 0x18
	v_or_b32_e32 v69, 0x140, v136
	s_waitcnt lgkmcnt(0)
	s_load_dwordx4 s[8:11], s[0:1], 0x0
	s_waitcnt lgkmcnt(0)
	v_mad_u64_u32 v[0:1], s[0:1], s10, v197, 0
	v_mad_u64_u32 v[2:3], s[0:1], s8, v136, 0
	s_movk_i32 s10, 0x1000
	v_mad_u64_u32 v[4:5], s[0:1], s11, v197, v[1:2]
	v_mad_u64_u32 v[5:6], s[0:1], s9, v136, v[3:4]
	v_mov_b32_e32 v1, v4
	v_lshlrev_b64 v[0:1], 4, v[0:1]
	v_mov_b32_e32 v3, v5
	v_mov_b32_e32 v6, s3
	v_lshlrev_b64 v[2:3], 4, v[2:3]
	v_add_co_u32_e64 v63, s[0:1], s2, v0
	v_addc_co_u32_e64 v66, s[0:1], v6, v1, s[0:1]
	v_add_co_u32_e64 v16, s[0:1], v63, v2
	v_addc_co_u32_e64 v17, s[0:1], v66, v3, s[0:1]
	v_mov_b32_e32 v0, s15
	v_add_co_u32_e64 v67, s[0:1], s14, v239
	v_addc_co_u32_e64 v68, s[0:1], 0, v0, s[0:1]
	s_mul_i32 s0, s9, 0x280
	s_mul_hi_u32 s2, s8, 0x280
	s_add_i32 s2, s2, s0
	s_mul_i32 s3, s8, 0x280
	v_mov_b32_e32 v0, s2
	v_add_co_u32_e64 v18, s[0:1], s3, v16
	v_addc_co_u32_e64 v19, s[0:1], v17, v0, s[0:1]
	global_load_dwordx4 v[0:3], v[16:17], off
	global_load_dwordx4 v[4:7], v[18:19], off
	global_load_dwordx4 v[8:11], v239, s[14:15]
	global_load_dwordx4 v[12:15], v239, s[14:15] offset:640
	v_mov_b32_e32 v16, s2
	v_add_co_u32_e64 v32, s[0:1], s3, v18
	v_addc_co_u32_e64 v33, s[0:1], v19, v16, s[0:1]
	v_add_co_u32_e64 v34, s[0:1], s3, v32
	v_addc_co_u32_e64 v35, s[0:1], v33, v16, s[0:1]
	global_load_dwordx4 v[16:19], v[32:33], off
	global_load_dwordx4 v[20:23], v[34:35], off
	global_load_dwordx4 v[24:27], v239, s[14:15] offset:1280
	global_load_dwordx4 v[28:31], v239, s[14:15] offset:1920
	v_mov_b32_e32 v32, s2
	v_add_co_u32_e64 v36, s[0:1], s3, v34
	v_addc_co_u32_e64 v37, s[0:1], v35, v32, s[0:1]
	v_mov_b32_e32 v38, s2
	v_add_co_u32_e64 v48, s[0:1], s3, v36
	v_addc_co_u32_e64 v49, s[0:1], v37, v38, s[0:1]
	;; [unrolled: 3-line block ×3, first 2 shown]
	v_mad_u64_u32 v[60:61], s[0:1], s8, v69, 0
	global_load_dwordx4 v[32:35], v[36:37], off
	v_mov_b32_e32 v58, s2
	v_add_co_u32_e64 v64, s[0:1], s3, v56
	global_load_dwordx4 v[36:39], v[48:49], off
	global_load_dwordx4 v[40:43], v239, s[14:15] offset:2560
	global_load_dwordx4 v[44:47], v239, s[14:15] offset:3200
	v_addc_co_u32_e64 v65, s[0:1], v57, v58, s[0:1]
	v_mad_u64_u32 v[61:62], s[0:1], s9, v69, v[61:62]
	v_add_co_u32_e64 v104, s[0:1], s10, v67
	v_lshlrev_b64 v[60:61], 4, v[60:61]
	v_addc_co_u32_e64 v105, s[0:1], 0, v68, s[0:1]
	v_add_co_u32_e64 v60, s[0:1], v63, v60
	v_addc_co_u32_e64 v61, s[0:1], v66, v61, s[0:1]
	v_mov_b32_e32 v66, 0x500
	v_mad_u64_u32 v[80:81], s[0:1], s8, v66, v[64:65]
	s_mul_i32 s0, s9, 0x500
	global_load_dwordx4 v[48:51], v[56:57], off
	global_load_dwordx4 v[52:55], v239, s[14:15] offset:3840
	v_add_u32_e32 v81, s0, v81
	v_mov_b32_e32 v82, s2
	v_add_co_u32_e64 v84, s[0:1], s3, v80
	global_load_dwordx4 v[56:59], v[64:65], off
	v_lshlrev_b32_e32 v64, 4, v69
	v_addc_co_u32_e64 v85, s[0:1], v81, v82, s[0:1]
	global_load_dwordx4 v[60:63], v[60:61], off
	v_mov_b32_e32 v86, s2
	global_load_dwordx4 v[64:67], v64, s[14:15]
	s_nop 0
	global_load_dwordx4 v[68:71], v[80:81], off
	global_load_dwordx4 v[72:75], v[104:105], off offset:384
	global_load_dwordx4 v[76:79], v[104:105], off offset:1664
	v_add_co_u32_e64 v96, s[0:1], s3, v84
	v_addc_co_u32_e64 v97, s[0:1], v85, v86, s[0:1]
	global_load_dwordx4 v[80:83], v[84:85], off
	v_mov_b32_e32 v98, s2
	v_add_co_u32_e64 v106, s[0:1], s3, v96
	global_load_dwordx4 v[84:87], v[96:97], off
	global_load_dwordx4 v[88:91], v[104:105], off offset:2304
	global_load_dwordx4 v[92:95], v[104:105], off offset:2944
	v_addc_co_u32_e64 v107, s[0:1], v97, v98, s[0:1]
	global_load_dwordx4 v[96:99], v[106:107], off
	global_load_dwordx4 v[100:103], v[104:105], off offset:3584
	s_waitcnt vmcnt(23)
	v_mul_f64 v[104:105], v[2:3], v[10:11]
	v_mul_f64 v[10:11], v[0:1], v[10:11]
	v_fma_f64 v[0:1], v[0:1], v[8:9], v[104:105]
	v_fma_f64 v[2:3], v[2:3], v[8:9], -v[10:11]
	s_waitcnt vmcnt(22)
	v_mul_f64 v[8:9], v[6:7], v[14:15]
	v_mul_f64 v[10:11], v[4:5], v[14:15]
	s_waitcnt vmcnt(19)
	v_mul_f64 v[14:15], v[18:19], v[26:27]
	v_mul_f64 v[26:27], v[16:17], v[26:27]
	;; [unrolled: 3-line block ×3, first 2 shown]
	v_fma_f64 v[4:5], v[4:5], v[12:13], v[8:9]
	v_fma_f64 v[6:7], v[6:7], v[12:13], -v[10:11]
	v_fma_f64 v[8:9], v[16:17], v[24:25], v[14:15]
	v_fma_f64 v[10:11], v[18:19], v[24:25], -v[26:27]
	;; [unrolled: 2-line block ×3, first 2 shown]
	s_waitcnt vmcnt(15)
	v_mul_f64 v[106:107], v[34:35], v[42:43]
	v_mul_f64 v[42:43], v[32:33], v[42:43]
	v_fma_f64 v[16:17], v[32:33], v[40:41], v[106:107]
	v_fma_f64 v[18:19], v[34:35], v[40:41], -v[42:43]
	ds_write_b128 v239, v[0:3]
	ds_write_b128 v239, v[4:7] offset:640
	ds_write_b128 v239, v[8:11] offset:1280
	;; [unrolled: 1-line block ×4, first 2 shown]
	s_waitcnt vmcnt(14)
	v_mul_f64 v[0:1], v[38:39], v[46:47]
	v_mul_f64 v[2:3], v[36:37], v[46:47]
	s_waitcnt vmcnt(12)
	v_mul_f64 v[4:5], v[50:51], v[54:55]
	v_mul_f64 v[6:7], v[48:49], v[54:55]
	v_fma_f64 v[0:1], v[36:37], v[44:45], v[0:1]
	v_fma_f64 v[2:3], v[38:39], v[44:45], -v[2:3]
	v_fma_f64 v[4:5], v[48:49], v[52:53], v[4:5]
	v_fma_f64 v[6:7], v[50:51], v[52:53], -v[6:7]
	s_waitcnt vmcnt(7)
	v_mul_f64 v[8:9], v[58:59], v[74:75]
	v_mul_f64 v[10:11], v[56:57], v[74:75]
	;; [unrolled: 1-line block ×4, first 2 shown]
	s_waitcnt vmcnt(6)
	v_mul_f64 v[16:17], v[70:71], v[78:79]
	v_mul_f64 v[18:19], v[68:69], v[78:79]
	v_fma_f64 v[8:9], v[56:57], v[72:73], v[8:9]
	s_waitcnt vmcnt(3)
	v_mul_f64 v[20:21], v[82:83], v[90:91]
	v_mul_f64 v[22:23], v[80:81], v[90:91]
	s_waitcnt vmcnt(2)
	v_mul_f64 v[24:25], v[86:87], v[94:95]
	v_mul_f64 v[26:27], v[84:85], v[94:95]
	;; [unrolled: 3-line block ×3, first 2 shown]
	v_fma_f64 v[10:11], v[58:59], v[72:73], -v[10:11]
	v_fma_f64 v[12:13], v[60:61], v[64:65], v[12:13]
	v_fma_f64 v[14:15], v[62:63], v[64:65], -v[14:15]
	v_fma_f64 v[16:17], v[68:69], v[76:77], v[16:17]
	;; [unrolled: 2-line block ×5, first 2 shown]
	v_fma_f64 v[30:31], v[98:99], v[100:101], -v[30:31]
	ds_write_b128 v239, v[0:3] offset:3200
	ds_write_b128 v239, v[4:7] offset:3840
	;; [unrolled: 1-line block ×8, first 2 shown]
.LBB0_3:
	s_or_b64 exec, exec, s[6:7]
	s_load_dwordx2 s[0:1], s[4:5], 0x20
	s_load_dwordx2 s[2:3], s[4:5], 0x8
	s_waitcnt lgkmcnt(0)
	; wave barrier
	s_waitcnt lgkmcnt(0)
                                        ; implicit-def: $vgpr4_vgpr5
                                        ; implicit-def: $vgpr8_vgpr9
                                        ; implicit-def: $vgpr12_vgpr13
                                        ; implicit-def: $vgpr20_vgpr21
                                        ; implicit-def: $vgpr28_vgpr29
                                        ; implicit-def: $vgpr44_vgpr45
                                        ; implicit-def: $vgpr52_vgpr53
                                        ; implicit-def: $vgpr48_vgpr49
                                        ; implicit-def: $vgpr40_vgpr41
                                        ; implicit-def: $vgpr36_vgpr37
                                        ; implicit-def: $vgpr32_vgpr33
                                        ; implicit-def: $vgpr24_vgpr25
                                        ; implicit-def: $vgpr16_vgpr17
	s_and_saveexec_b64 s[4:5], vcc
	s_cbranch_execz .LBB0_5
; %bb.4:
	ds_read_b128 v[4:7], v239
	ds_read_b128 v[16:19], v239 offset:640
	ds_read_b128 v[24:27], v239 offset:1280
	;; [unrolled: 1-line block ×12, first 2 shown]
.LBB0_5:
	s_or_b64 exec, exec, s[4:5]
	s_waitcnt lgkmcnt(0)
	v_add_f64 v[94:95], v[18:19], -v[54:55]
	v_add_f64 v[86:87], v[16:17], -v[52:53]
	s_mov_b32 s16, 0x4267c47c
	s_mov_b32 s17, 0xbfddbe06
	v_add_f64 v[74:75], v[52:53], v[16:17]
	v_add_f64 v[102:103], v[54:55], v[18:19]
	v_add_f64 v[108:109], v[26:27], -v[46:47]
	v_add_f64 v[98:99], v[24:25], -v[44:45]
	v_mul_f64 v[56:57], v[94:95], s[16:17]
	v_mul_f64 v[58:59], v[86:87], s[16:17]
	s_mov_b32 s6, 0xe00740e9
	s_mov_b32 s8, 0x42a4c3d2
	;; [unrolled: 1-line block ×4, first 2 shown]
	v_add_f64 v[88:89], v[44:45], v[24:25]
	v_add_f64 v[122:123], v[46:47], v[26:27]
	v_fma_f64 v[0:1], v[74:75], s[6:7], v[56:57]
	v_fma_f64 v[2:3], v[102:103], s[6:7], -v[58:59]
	v_mul_f64 v[60:61], v[108:109], s[8:9]
	v_mul_f64 v[62:63], v[98:99], s[8:9]
	v_add_f64 v[124:125], v[10:11], -v[50:51]
	v_add_f64 v[112:113], v[8:9], -v[48:49]
	s_mov_b32 s4, 0x1ea71119
	s_mov_b32 s20, 0x66966769
	;; [unrolled: 1-line block ×4, first 2 shown]
	v_add_f64 v[0:1], v[4:5], v[0:1]
	v_add_f64 v[2:3], v[6:7], v[2:3]
	v_fma_f64 v[68:69], v[88:89], s[4:5], v[60:61]
	v_fma_f64 v[70:71], v[122:123], s[4:5], -v[62:63]
	v_add_f64 v[106:107], v[8:9], v[48:49]
	v_add_f64 v[132:133], v[10:11], v[50:51]
	v_mul_f64 v[64:65], v[124:125], s[20:21]
	v_mul_f64 v[66:67], v[112:113], s[20:21]
	v_add_f64 v[137:138], v[14:15], -v[42:43]
	v_add_f64 v[120:121], v[12:13], -v[40:41]
	s_mov_b32 s10, 0xebaa3ed8
	s_mov_b32 s24, 0x2ef20147
	;; [unrolled: 1-line block ×4, first 2 shown]
	v_add_f64 v[0:1], v[68:69], v[0:1]
	v_add_f64 v[2:3], v[70:71], v[2:3]
	v_fma_f64 v[72:73], v[106:107], s[10:11], v[64:65]
	v_add_f64 v[110:111], v[12:13], v[40:41]
	v_mul_f64 v[68:69], v[137:138], s[24:25]
	v_fma_f64 v[76:77], v[132:133], s[10:11], -v[66:67]
	v_add_f64 v[134:135], v[14:15], v[42:43]
	v_mul_f64 v[70:71], v[120:121], s[24:25]
	v_add_f64 v[141:142], v[34:35], -v[30:31]
	v_add_f64 v[157:158], v[32:33], -v[28:29]
	s_mov_b32 s22, 0xb2365da1
	s_mov_b32 s28, 0x24c2f84
	;; [unrolled: 1-line block ×6, first 2 shown]
	v_add_f64 v[0:1], v[72:73], v[0:1]
	v_fma_f64 v[78:79], v[110:111], s[22:23], v[68:69]
	v_add_f64 v[128:129], v[28:29], v[32:33]
	v_mul_f64 v[72:73], v[141:142], s[36:37]
	v_add_f64 v[2:3], v[76:77], v[2:3]
	v_fma_f64 v[76:77], v[134:135], s[22:23], -v[70:71]
	v_add_f64 v[159:160], v[30:31], v[34:35]
	v_mul_f64 v[84:85], v[157:158], s[36:37]
	s_mov_b32 s26, 0xd0032e0c
	s_mov_b32 s27, 0xbfe7f3cc
	v_add_f64 v[0:1], v[78:79], v[0:1]
	v_fma_f64 v[78:79], v[128:129], s[26:27], v[72:73]
	v_mul_f64 v[96:97], v[94:95], s[8:9]
	v_add_f64 v[2:3], v[76:77], v[2:3]
	v_mul_f64 v[149:150], v[86:87], s[8:9]
	v_fma_f64 v[76:77], v[159:160], s[26:27], -v[84:85]
	v_mul_f64 v[100:101], v[108:109], s[24:25]
	v_mul_f64 v[116:117], v[98:99], s[24:25]
	s_mov_b32 s34, 0x4bc48dbf
	v_add_f64 v[0:1], v[78:79], v[0:1]
	s_mov_b32 s35, 0xbfcea1e5
	v_mul_f64 v[104:105], v[124:125], s[34:35]
	v_fma_f64 v[78:79], v[102:103], s[4:5], -v[149:150]
	v_add_f64 v[2:3], v[76:77], v[2:3]
	v_fma_f64 v[76:77], v[74:75], s[4:5], v[96:97]
	v_fma_f64 v[80:81], v[88:89], s[22:23], v[100:101]
	v_fma_f64 v[82:83], v[122:123], s[22:23], -v[116:117]
	v_mul_f64 v[118:119], v[112:113], s[34:35]
	v_mul_f64 v[143:144], v[94:95], s[20:21]
	;; [unrolled: 1-line block ×3, first 2 shown]
	v_add_f64 v[78:79], v[6:7], v[78:79]
	s_mov_b32 s30, 0x93053d00
	v_add_f64 v[76:77], v[4:5], v[76:77]
	s_mov_b32 s31, 0xbfef11f4
	v_mul_f64 v[114:115], v[137:138], s[28:29]
	v_mul_f64 v[139:140], v[120:121], s[28:29]
	v_fma_f64 v[126:127], v[74:75], s[10:11], v[143:144]
	v_mul_f64 v[145:146], v[108:109], s[34:35]
	v_add_f64 v[78:79], v[82:83], v[78:79]
	v_fma_f64 v[82:83], v[132:133], s[30:31], -v[118:119]
	v_add_f64 v[76:77], v[80:81], v[76:77]
	v_fma_f64 v[80:81], v[106:107], s[30:31], v[104:105]
	v_fma_f64 v[130:131], v[102:103], s[10:11], -v[199:200]
	v_mul_f64 v[201:202], v[98:99], s[34:35]
	s_mov_b32 s43, 0x3fedeba7
	s_mov_b32 s42, s24
	v_add_f64 v[126:127], v[4:5], v[126:127]
	v_add_f64 v[78:79], v[82:83], v[78:79]
	v_fma_f64 v[82:83], v[134:135], s[26:27], -v[139:140]
	v_add_f64 v[76:77], v[80:81], v[76:77]
	v_fma_f64 v[80:81], v[110:111], s[26:27], v[114:115]
	v_fma_f64 v[151:152], v[88:89], s[30:31], v[145:146]
	v_add_f64 v[130:131], v[6:7], v[130:131]
	v_fma_f64 v[153:154], v[122:123], s[30:31], -v[201:202]
	v_mul_f64 v[147:148], v[124:125], s[42:43]
	v_mul_f64 v[163:164], v[112:113], s[42:43]
	s_mov_b32 s39, 0x3fddbe06
	s_mov_b32 s38, s16
	v_add_f64 v[76:77], v[80:81], v[76:77]
	v_add_f64 v[78:79], v[82:83], v[78:79]
	;; [unrolled: 1-line block ×4, first 2 shown]
	v_fma_f64 v[130:131], v[106:107], s[22:23], v[147:148]
	v_fma_f64 v[155:156], v[132:133], s[22:23], -v[163:164]
	v_mul_f64 v[151:152], v[137:138], s[38:39]
	v_mul_f64 v[167:168], v[120:121], s[38:39]
	s_mov_b32 s41, 0x3fefc445
	s_mov_b32 s40, s20
	v_add_f64 v[187:188], v[38:39], -v[22:23]
	v_add_f64 v[191:192], v[36:37], -v[20:21]
	v_mul_f64 v[126:127], v[141:142], s[40:41]
	v_mul_f64 v[153:154], v[157:158], s[40:41]
	v_add_f64 v[80:81], v[130:131], v[80:81]
	v_add_f64 v[82:83], v[155:156], v[82:83]
	v_fma_f64 v[165:166], v[110:111], s[6:7], v[151:152]
	v_fma_f64 v[171:172], v[134:135], s[6:7], -v[167:168]
	v_mul_f64 v[155:156], v[141:142], s[8:9]
	v_mul_f64 v[169:170], v[157:158], s[8:9]
	v_add_f64 v[173:174], v[20:21], v[36:37]
	v_mul_f64 v[90:91], v[187:188], s[34:35]
	v_add_f64 v[189:190], v[22:23], v[38:39]
	v_mul_f64 v[92:93], v[191:192], s[34:35]
	v_fma_f64 v[179:180], v[128:129], s[10:11], v[126:127]
	v_fma_f64 v[181:182], v[159:160], s[10:11], -v[153:154]
	v_mul_f64 v[130:131], v[187:188], s[38:39]
	v_mul_f64 v[161:162], v[191:192], s[38:39]
	v_add_f64 v[80:81], v[165:166], v[80:81]
	v_add_f64 v[82:83], v[171:172], v[82:83]
	v_fma_f64 v[183:184], v[128:129], s[4:5], v[155:156]
	v_fma_f64 v[185:186], v[159:160], s[4:5], -v[169:170]
	v_mul_f64 v[165:166], v[187:188], s[36:37]
	v_mul_f64 v[171:172], v[191:192], s[36:37]
	v_fma_f64 v[175:176], v[173:174], s[30:31], v[90:91]
	v_fma_f64 v[177:178], v[189:190], s[30:31], -v[92:93]
	v_add_f64 v[76:77], v[179:180], v[76:77]
	v_add_f64 v[78:79], v[181:182], v[78:79]
	v_fma_f64 v[179:180], v[173:174], s[6:7], v[130:131]
	v_fma_f64 v[181:182], v[189:190], s[6:7], -v[161:162]
	v_add_f64 v[183:184], v[183:184], v[80:81]
	v_add_f64 v[185:186], v[185:186], v[82:83]
	;; [unrolled: 4-line block ×3, first 2 shown]
	v_add_f64 v[80:81], v[179:180], v[76:77]
	v_add_f64 v[82:83], v[181:182], v[78:79]
	v_mul_lo_u16_e32 v198, 13, v136
	v_add_f64 v[76:77], v[193:194], v[183:184]
	v_add_f64 v[78:79], v[195:196], v[185:186]
	; wave barrier
	s_and_saveexec_b64 s[18:19], vcc
	s_cbranch_execz .LBB0_7
; %bb.6:
	v_mul_f64 v[203:204], v[102:103], s[30:31]
	s_mov_b32 s45, 0x3fcea1e5
	s_mov_b32 s44, s34
	v_mul_f64 v[205:206], v[122:123], s[6:7]
	v_mul_f64 v[211:212], v[94:95], s[34:35]
	;; [unrolled: 1-line block ×5, first 2 shown]
	v_fma_f64 v[207:208], v[86:87], s[44:45], v[203:204]
	v_mul_f64 v[246:247], v[124:125], s[36:37]
	v_fma_f64 v[203:204], v[86:87], s[34:35], v[203:204]
	v_fma_f64 v[229:230], v[98:99], s[16:17], v[205:206]
	;; [unrolled: 1-line block ×4, first 2 shown]
	v_fma_f64 v[211:212], v[74:75], s[30:31], -v[211:212]
	s_mov_b32 s47, 0x3fea55e2
	v_add_f64 v[207:208], v[6:7], v[207:208]
	s_mov_b32 s46, s8
	v_mul_f64 v[213:214], v[159:160], s[22:23]
	v_fma_f64 v[242:243], v[120:121], s[8:9], v[215:216]
	v_add_f64 v[235:236], v[4:5], v[235:236]
	v_mul_f64 v[248:249], v[137:138], s[46:47]
	v_fma_f64 v[250:251], v[106:107], s[26:27], v[246:247]
	v_fma_f64 v[205:206], v[98:99], s[38:39], v[205:206]
	v_add_f64 v[207:208], v[229:230], v[207:208]
	v_fma_f64 v[229:230], v[88:89], s[6:7], v[231:232]
	v_add_f64 v[203:204], v[6:7], v[203:204]
	v_fma_f64 v[231:232], v[88:89], s[6:7], -v[231:232]
	v_add_f64 v[211:212], v[4:5], v[211:212]
	v_mul_f64 v[209:210], v[189:190], s[10:11]
	v_fma_f64 v[237:238], v[157:158], s[42:43], v[213:214]
	v_fma_f64 v[217:218], v[112:113], s[36:37], v[217:218]
	v_add_f64 v[207:208], v[244:245], v[207:208]
	v_add_f64 v[229:230], v[229:230], v[235:236]
	v_mul_f64 v[235:236], v[141:142], s[24:25]
	v_fma_f64 v[244:245], v[110:111], s[4:5], v[248:249]
	v_add_f64 v[203:204], v[205:206], v[203:204]
	v_fma_f64 v[246:247], v[106:107], s[26:27], -v[246:247]
	v_add_f64 v[211:212], v[231:232], v[211:212]
	v_fma_f64 v[233:234], v[191:192], s[20:21], v[209:210]
	v_add_f64 v[207:208], v[242:243], v[207:208]
	v_add_f64 v[205:206], v[250:251], v[229:230]
	v_mul_f64 v[229:230], v[187:188], s[40:41]
	v_fma_f64 v[242:243], v[128:129], s[22:23], v[235:236]
	v_fma_f64 v[215:216], v[120:121], s[46:47], v[215:216]
	v_add_f64 v[203:204], v[217:218], v[203:204]
	v_add_f64 v[211:212], v[246:247], v[211:212]
	v_fma_f64 v[213:214], v[157:158], s[24:25], v[213:214]
	v_add_f64 v[207:208], v[237:238], v[207:208]
	v_add_f64 v[205:206], v[244:245], v[205:206]
	v_fma_f64 v[237:238], v[110:111], s[4:5], -v[248:249]
	v_fma_f64 v[217:218], v[173:174], s[10:11], v[229:230]
	v_fma_f64 v[229:230], v[173:174], s[10:11], -v[229:230]
	v_add_f64 v[203:204], v[215:216], v[203:204]
	v_mul_f64 v[246:247], v[124:125], s[8:9]
	v_mul_f64 v[183:184], v[102:103], s[6:7]
	v_mul_f64 v[219:220], v[102:103], s[4:5]
	v_add_f64 v[215:216], v[242:243], v[205:206]
	v_add_f64 v[205:206], v[233:234], v[207:208]
	v_mul_f64 v[233:234], v[102:103], s[26:27]
	v_fma_f64 v[207:208], v[191:192], s[40:41], v[209:210]
	v_fma_f64 v[209:210], v[128:129], s[22:23], -v[235:236]
	v_mul_f64 v[235:236], v[94:95], s[36:37]
	v_add_f64 v[211:212], v[237:238], v[211:212]
	v_add_f64 v[213:214], v[213:214], v[203:204]
	;; [unrolled: 1-line block ×3, first 2 shown]
	v_mul_f64 v[215:216], v[122:123], s[10:11]
	v_fma_f64 v[217:218], v[86:87], s[28:29], v[233:234]
	v_mul_f64 v[237:238], v[108:109], s[40:41]
	v_fma_f64 v[250:251], v[106:107], s[4:5], v[246:247]
	v_fma_f64 v[242:243], v[74:75], s[26:27], v[235:236]
	v_add_f64 v[211:212], v[209:210], v[211:212]
	v_add_f64 v[209:210], v[207:208], v[213:214]
	v_mul_f64 v[213:214], v[132:133], s[4:5]
	v_fma_f64 v[244:245], v[98:99], s[20:21], v[215:216]
	v_add_f64 v[217:218], v[6:7], v[217:218]
	v_fma_f64 v[248:249], v[88:89], s[10:11], v[237:238]
	v_fma_f64 v[215:216], v[98:99], s[40:41], v[215:216]
	v_add_f64 v[242:243], v[4:5], v[242:243]
	v_add_f64 v[207:208], v[229:230], v[211:212]
	v_fma_f64 v[229:230], v[86:87], s[36:37], v[233:234]
	v_mul_f64 v[211:212], v[134:135], s[30:31]
	v_fma_f64 v[233:234], v[112:113], s[46:47], v[213:214]
	v_add_f64 v[217:218], v[244:245], v[217:218]
	v_mul_f64 v[244:245], v[159:160], s[6:7]
	v_fma_f64 v[235:236], v[74:75], s[26:27], -v[235:236]
	v_add_f64 v[242:243], v[248:249], v[242:243]
	v_mul_f64 v[248:249], v[137:138], s[44:45]
	v_add_f64 v[229:230], v[6:7], v[229:230]
	v_fma_f64 v[252:253], v[120:121], s[34:35], v[211:212]
	v_fma_f64 v[213:214], v[112:113], s[8:9], v[213:214]
	v_add_f64 v[217:218], v[233:234], v[217:218]
	v_mul_f64 v[233:234], v[141:142], s[38:39]
	v_fma_f64 v[237:238], v[88:89], s[10:11], -v[237:238]
	v_add_f64 v[242:243], v[250:251], v[242:243]
	v_fma_f64 v[250:251], v[110:111], s[30:31], v[248:249]
	v_add_f64 v[215:216], v[215:216], v[229:230]
	v_mul_f64 v[229:230], v[189:190], s[22:23]
	v_add_f64 v[235:236], v[4:5], v[235:236]
	v_add_f64 v[217:218], v[252:253], v[217:218]
	v_fma_f64 v[252:253], v[157:158], s[16:17], v[244:245]
	v_mul_f64 v[221:222], v[102:103], s[10:11]
	v_fma_f64 v[211:212], v[120:121], s[44:45], v[211:212]
	v_add_f64 v[242:243], v[250:251], v[242:243]
	v_fma_f64 v[250:251], v[128:129], s[6:7], v[233:234]
	v_add_f64 v[213:214], v[213:214], v[215:216]
	v_mul_f64 v[215:216], v[187:188], s[24:25]
	v_fma_f64 v[246:247], v[106:107], s[4:5], -v[246:247]
	v_add_f64 v[235:236], v[237:238], v[235:236]
	v_add_f64 v[217:218], v[252:253], v[217:218]
	v_fma_f64 v[252:253], v[191:192], s[42:43], v[229:230]
	v_mul_f64 v[102:103], v[102:103], s[22:23]
	v_add_f64 v[242:243], v[250:251], v[242:243]
	v_mul_f64 v[175:176], v[74:75], s[6:7]
	v_fma_f64 v[250:251], v[173:174], s[22:23], v[215:216]
	v_mul_f64 v[181:182], v[122:123], s[4:5]
	v_mul_f64 v[223:224], v[122:123], s[22:23]
	;; [unrolled: 1-line block ×3, first 2 shown]
	v_add_f64 v[254:255], v[211:212], v[213:214]
	v_add_f64 v[235:236], v[246:247], v[235:236]
	v_add_f64 v[213:214], v[252:253], v[217:218]
	v_fma_f64 v[217:218], v[110:111], s[30:31], -v[248:249]
	v_fma_f64 v[244:245], v[157:158], s[38:39], v[244:245]
	v_add_f64 v[211:212], v[250:251], v[242:243]
	v_mul_f64 v[122:123], v[122:123], s[26:27]
	v_mul_f64 v[94:95], v[94:95], s[24:25]
	v_fma_f64 v[242:243], v[86:87], s[42:43], v[102:103]
	v_fma_f64 v[86:87], v[86:87], s[24:25], v[102:103]
	buffer_store_dword v175, off, s[48:51], 0 ; 4-byte Folded Spill
	s_nop 0
	buffer_store_dword v176, off, s[48:51], 0 offset:4 ; 4-byte Folded Spill
	v_mul_f64 v[175:176], v[132:133], s[10:11]
	v_mul_f64 v[237:238], v[132:133], s[30:31]
	;; [unrolled: 1-line block ×3, first 2 shown]
	v_fma_f64 v[229:230], v[191:192], s[24:25], v[229:230]
	v_fma_f64 v[233:234], v[128:129], s[6:7], -v[233:234]
	v_add_f64 v[217:218], v[217:218], v[235:236]
	v_add_f64 v[235:236], v[244:245], v[254:255]
	v_fma_f64 v[244:245], v[98:99], s[36:37], v[122:123]
	v_mul_f64 v[108:109], v[108:109], s[28:29]
	v_fma_f64 v[248:249], v[74:75], s[22:23], v[94:95]
	v_add_f64 v[242:243], v[6:7], v[242:243]
	v_mul_f64 v[132:133], v[132:133], s[6:7]
	v_fma_f64 v[98:99], v[98:99], s[28:29], v[122:123]
	v_add_f64 v[86:87], v[6:7], v[86:87]
	v_mul_f64 v[177:178], v[74:75], s[4:5]
	v_mul_f64 v[195:196], v[74:75], s[10:11]
	v_add_f64 v[233:234], v[233:234], v[217:218]
	v_add_f64 v[217:218], v[229:230], v[235:236]
	v_mul_f64 v[229:230], v[134:135], s[10:11]
	v_mul_f64 v[124:125], v[124:125], s[38:39]
	v_fma_f64 v[235:236], v[88:89], s[26:27], v[108:109]
	v_add_f64 v[248:249], v[4:5], v[248:249]
	v_add_f64 v[242:243], v[244:245], v[242:243]
	v_fma_f64 v[244:245], v[112:113], s[16:17], v[132:133]
	v_fma_f64 v[112:113], v[112:113], s[38:39], v[132:133]
	v_add_f64 v[86:87], v[98:99], v[86:87]
	v_fma_f64 v[74:75], v[74:75], s[22:23], -v[94:95]
	v_mul_f64 v[179:180], v[88:89], s[4:5]
	v_mul_f64 v[185:186], v[88:89], s[22:23]
	;; [unrolled: 1-line block ×3, first 2 shown]
	v_fma_f64 v[250:251], v[120:121], s[40:41], v[229:230]
	v_fma_f64 v[102:103], v[106:107], s[6:7], v[124:125]
	v_add_f64 v[235:236], v[235:236], v[248:249]
	v_mul_f64 v[137:138], v[137:138], s[20:21]
	v_mul_f64 v[98:99], v[159:160], s[30:31]
	v_fma_f64 v[120:121], v[120:121], s[20:21], v[229:230]
	v_add_f64 v[86:87], v[112:113], v[86:87]
	v_fma_f64 v[88:89], v[88:89], s[26:27], -v[108:109]
	v_add_f64 v[74:75], v[4:5], v[74:75]
	v_mul_f64 v[193:194], v[106:107], s[10:11]
	v_mul_f64 v[231:232], v[106:107], s[30:31]
	;; [unrolled: 1-line block ×3, first 2 shown]
	v_fma_f64 v[215:216], v[173:174], s[22:23], -v[215:216]
	v_add_f64 v[242:243], v[244:245], v[242:243]
	v_add_f64 v[102:103], v[102:103], v[235:236]
	v_fma_f64 v[235:236], v[110:111], s[10:11], v[137:138]
	v_fma_f64 v[112:113], v[157:158], s[34:35], v[98:99]
	;; [unrolled: 1-line block ×3, first 2 shown]
	v_mul_f64 v[108:109], v[189:190], s[4:5]
	v_add_f64 v[86:87], v[120:121], v[86:87]
	v_mul_f64 v[141:142], v[141:142], s[44:45]
	v_fma_f64 v[106:107], v[106:107], s[6:7], -v[124:125]
	v_add_f64 v[74:75], v[88:89], v[74:75]
	v_add_f64 v[215:216], v[215:216], v[233:234]
	v_mul_f64 v[233:234], v[110:111], s[22:23]
	v_mul_f64 v[248:249], v[110:111], s[26:27]
	v_add_f64 v[242:243], v[250:251], v[242:243]
	v_mul_f64 v[250:251], v[110:111], s[6:7]
	v_add_f64 v[102:103], v[235:236], v[102:103]
	v_fma_f64 v[88:89], v[191:192], s[8:9], v[108:109]
	v_fma_f64 v[108:109], v[191:192], s[46:47], v[108:109]
	v_add_f64 v[86:87], v[98:99], v[86:87]
	v_fma_f64 v[98:99], v[128:129], s[30:31], v[141:142]
	v_fma_f64 v[110:111], v[110:111], s[10:11], -v[137:138]
	v_add_f64 v[74:75], v[106:107], v[74:75]
	v_add_f64 v[199:200], v[199:200], v[221:222]
	v_mul_f64 v[244:245], v[134:135], s[22:23]
	v_mul_f64 v[122:123], v[134:135], s[26:27]
	;; [unrolled: 1-line block ×3, first 2 shown]
	v_add_f64 v[18:19], v[6:7], v[18:19]
	v_add_f64 v[98:99], v[98:99], v[102:103]
	v_fma_f64 v[102:103], v[128:129], s[30:31], -v[141:142]
	v_add_f64 v[110:111], v[110:111], v[74:75]
	v_add_f64 v[74:75], v[108:109], v[86:87]
	;; [unrolled: 1-line block ×6, first 2 shown]
	v_add_f64 v[143:144], v[195:196], -v[143:144]
	v_mul_f64 v[235:236], v[159:160], s[26:27]
	v_add_f64 v[102:103], v[102:103], v[110:111]
	v_add_f64 v[110:111], v[163:164], v[246:247]
	v_mul_f64 v[229:230], v[159:160], s[10:11]
	v_add_f64 v[86:87], v[86:87], v[108:109]
	v_add_f64 v[108:109], v[116:117], v[223:224]
	;; [unrolled: 1-line block ×3, first 2 shown]
	v_mul_f64 v[159:160], v[159:160], s[4:5]
	v_add_f64 v[18:19], v[26:27], v[18:19]
	v_add_f64 v[16:17], v[24:25], v[16:17]
	;; [unrolled: 1-line block ×3, first 2 shown]
	v_add_f64 v[26:27], v[225:226], -v[145:146]
	v_add_f64 v[134:135], v[4:5], v[143:144]
	v_add_f64 v[86:87], v[110:111], v[86:87]
	;; [unrolled: 1-line block ×7, first 2 shown]
	v_add_f64 v[18:19], v[240:241], -v[147:148]
	v_add_f64 v[26:27], v[26:27], v[134:135]
	v_add_f64 v[24:25], v[24:25], v[86:87]
	;; [unrolled: 1-line block ×7, first 2 shown]
	v_mul_f64 v[132:133], v[128:129], s[26:27]
	v_add_f64 v[18:19], v[18:19], v[26:27]
	v_add_f64 v[16:17], v[16:17], v[24:25]
	;; [unrolled: 1-line block ×7, first 2 shown]
	v_add_f64 v[58:59], v[179:180], -v[60:61]
	v_mul_f64 v[94:95], v[128:129], s[10:11]
	v_mul_f64 v[157:158], v[128:129], s[4:5]
	v_add_f64 v[14:15], v[250:251], -v[151:152]
	v_add_f64 v[24:25], v[24:25], v[26:27]
	buffer_load_dword v26, off, s[48:51], 0 ; 4-byte Folded Reload
	buffer_load_dword v27, off, s[48:51], 0 offset:4 ; 4-byte Folded Reload
	v_add_f64 v[10:11], v[38:39], v[10:11]
	v_add_f64 v[8:9], v[36:37], v[8:9]
	v_add_f64 v[36:37], v[177:178], -v[96:97]
	v_add_f64 v[38:39], v[185:186], -v[100:101]
	v_mul_f64 v[124:125], v[189:190], s[30:31]
	v_mul_f64 v[137:138], v[189:190], s[6:7]
	v_mul_f64 v[189:190], v[189:190], s[26:27]
	v_mul_f64 v[120:121], v[173:174], s[30:31]
	v_add_f64 v[10:11], v[22:23], v[10:11]
	v_add_f64 v[8:9], v[20:21], v[8:9]
	v_add_f64 v[22:23], v[231:232], -v[104:105]
	v_mul_f64 v[191:192], v[173:174], s[6:7]
	v_mul_f64 v[106:107], v[173:174], s[26:27]
	v_add_f64 v[34:35], v[157:158], -v[155:156]
	v_add_f64 v[14:15], v[14:15], v[18:19]
	v_mul_f64 v[187:188], v[187:188], s[46:47]
	v_add_f64 v[10:11], v[30:31], v[10:11]
	v_add_f64 v[8:9], v[28:29], v[8:9]
	;; [unrolled: 1-line block ×3, first 2 shown]
	v_add_f64 v[28:29], v[248:249], -v[114:115]
	v_add_f64 v[12:13], v[171:172], v[189:190]
	v_add_f64 v[18:19], v[161:162], v[137:138]
	v_add_f64 v[32:33], v[106:107], -v[165:166]
	v_fma_f64 v[128:129], v[173:174], s[4:5], -v[187:188]
	v_add_f64 v[10:11], v[42:43], v[10:11]
	v_add_f64 v[8:9], v[40:41], v[8:9]
	;; [unrolled: 1-line block ×3, first 2 shown]
	v_fma_f64 v[221:222], v[173:174], s[4:5], v[187:188]
	v_add_f64 v[10:11], v[50:51], v[10:11]
	v_add_f64 v[8:9], v[48:49], v[8:9]
	;; [unrolled: 1-line block ×5, first 2 shown]
	v_lshlrev_b32_e32 v24, 4, v198
	v_add_f64 v[18:19], v[54:55], v[40:41]
	s_waitcnt vmcnt(0)
	v_add_f64 v[26:27], v[26:27], -v[56:57]
	v_add_f64 v[56:57], v[62:63], v[181:182]
	v_add_f64 v[20:21], v[4:5], v[26:27]
	;; [unrolled: 1-line block ×5, first 2 shown]
	v_add_f64 v[36:37], v[193:194], -v[64:65]
	v_add_f64 v[20:21], v[58:59], v[20:21]
	v_add_f64 v[4:5], v[38:39], v[4:5]
	v_add_f64 v[38:39], v[120:121], -v[90:91]
	v_add_f64 v[6:7], v[26:27], v[6:7]
	v_add_f64 v[26:27], v[233:234], -v[68:69]
	v_add_f64 v[20:21], v[36:37], v[20:21]
	v_add_f64 v[4:5], v[22:23], v[4:5]
	;; [unrolled: 1-line block ×4, first 2 shown]
	v_add_f64 v[30:31], v[132:133], -v[72:73]
	v_add_f64 v[22:23], v[94:95], -v[126:127]
	v_add_f64 v[72:73], v[128:129], v[102:103]
	v_add_f64 v[20:21], v[26:27], v[20:21]
	;; [unrolled: 1-line block ×5, first 2 shown]
	v_add_f64 v[26:27], v[191:192], -v[130:131]
	v_add_f64 v[6:7], v[12:13], v[16:17]
	v_add_f64 v[16:17], v[52:53], v[8:9]
	;; [unrolled: 1-line block ×11, first 2 shown]
	ds_write_b128 v24, v[16:19]
	ds_write_b128 v24, v[12:15] offset:16
	ds_write_b128 v24, v[8:11] offset:32
	;; [unrolled: 1-line block ×12, first 2 shown]
.LBB0_7:
	s_or_b64 exec, exec, s[18:19]
	s_movk_i32 s4, 0x4f
	v_mul_lo_u16_sdwa v4, v136, s4 dst_sel:DWORD dst_unused:UNUSED_PAD src0_sel:BYTE_0 src1_sel:DWORD
	v_lshrrev_b16_e32 v134, 10, v4
	v_mul_lo_u16_e32 v4, 13, v134
	v_sub_u16_e32 v4, v136, v4
	v_and_b32_e32 v135, 0xff, v4
	v_mov_b32_e32 v5, s3
	s_movk_i32 s4, 0x90
	v_mov_b32_e32 v4, s2
	v_mad_u64_u32 v[36:37], s[4:5], v135, s4, v[4:5]
	s_load_dwordx4 s[4:7], s[0:1], 0x0
	s_waitcnt lgkmcnt(0)
	; wave barrier
	s_waitcnt lgkmcnt(0)
	global_load_dwordx4 v[20:23], v[36:37], off
	global_load_dwordx4 v[12:15], v[36:37], off offset:16
	global_load_dwordx4 v[8:11], v[36:37], off offset:32
	global_load_dwordx4 v[4:7], v[36:37], off offset:48
	global_load_dwordx4 v[32:35], v[36:37], off offset:64
	global_load_dwordx4 v[24:27], v[36:37], off offset:80
	global_load_dwordx4 v[16:19], v[36:37], off offset:96
	global_load_dwordx4 v[28:31], v[36:37], off offset:112
	global_load_dwordx4 v[48:51], v[36:37], off offset:128
	ds_read_b128 v[36:39], v239
	ds_read_b128 v[40:43], v239 offset:832
	ds_read_b128 v[44:47], v239 offset:1664
	;; [unrolled: 1-line block ×9, first 2 shown]
	s_mov_b32 s0, 0x134454ff
	s_mov_b32 s1, 0x3fee6f0e
	;; [unrolled: 1-line block ×12, first 2 shown]
	s_waitcnt lgkmcnt(0)
	; wave barrier
	s_waitcnt vmcnt(8) lgkmcnt(0)
	v_mul_f64 v[88:89], v[42:43], v[22:23]
	s_waitcnt vmcnt(7)
	v_mul_f64 v[92:93], v[46:47], v[14:15]
	v_mul_f64 v[94:95], v[44:45], v[14:15]
	s_waitcnt vmcnt(5)
	v_mul_f64 v[100:101], v[58:59], v[6:7]
	;; [unrolled: 3-line block ×4, first 2 shown]
	v_mul_f64 v[90:91], v[40:41], v[22:23]
	v_mul_f64 v[96:97], v[54:55], v[10:11]
	;; [unrolled: 1-line block ×7, first 2 shown]
	v_fma_f64 v[44:45], v[44:45], v[12:13], -v[92:93]
	v_fma_f64 v[46:47], v[46:47], v[12:13], v[94:95]
	v_fma_f64 v[56:57], v[56:57], v[4:5], -v[100:101]
	v_fma_f64 v[58:59], v[58:59], v[4:5], v[102:103]
	v_fma_f64 v[64:65], v[64:65], v[24:25], -v[108:109]
	v_fma_f64 v[66:67], v[66:67], v[24:25], v[110:111]
	v_fma_f64 v[72:73], v[72:73], v[28:29], -v[116:117]
	v_mul_f64 v[114:115], v[68:69], v[18:19]
	s_waitcnt vmcnt(0)
	v_mul_f64 v[122:123], v[84:85], v[50:51]
	v_fma_f64 v[40:41], v[40:41], v[20:21], -v[88:89]
	v_fma_f64 v[42:43], v[42:43], v[20:21], v[90:91]
	v_fma_f64 v[52:53], v[52:53], v[8:9], -v[96:97]
	v_fma_f64 v[54:55], v[54:55], v[8:9], v[98:99]
	;; [unrolled: 2-line block ×3, first 2 shown]
	v_fma_f64 v[74:75], v[74:75], v[28:29], v[118:119]
	v_fma_f64 v[68:69], v[68:69], v[16:17], -v[112:113]
	v_add_f64 v[88:89], v[36:37], v[44:45]
	v_add_f64 v[90:91], v[56:57], v[64:65]
	v_add_f64 v[96:97], v[44:45], -v[56:57]
	v_add_f64 v[98:99], v[72:73], -v[64:65]
	v_add_f64 v[100:101], v[44:45], v[72:73]
	v_add_f64 v[106:107], v[38:39], v[46:47]
	;; [unrolled: 1-line block ×3, first 2 shown]
	v_mul_f64 v[120:121], v[86:87], v[50:51]
	v_fma_f64 v[86:87], v[86:87], v[48:49], v[122:123]
	v_add_f64 v[92:93], v[46:47], -v[74:75]
	v_add_f64 v[94:95], v[58:59], -v[66:67]
	;; [unrolled: 1-line block ×7, first 2 shown]
	v_add_f64 v[116:117], v[46:47], v[74:75]
	v_add_f64 v[46:47], v[58:59], -v[46:47]
	v_add_f64 v[122:123], v[60:61], v[68:69]
	v_add_f64 v[56:57], v[88:89], v[56:57]
	v_fma_f64 v[88:89], v[90:91], -0.5, v[36:37]
	v_add_f64 v[90:91], v[96:97], v[98:99]
	v_fma_f64 v[36:37], v[100:101], -0.5, v[36:37]
	;; [unrolled: 2-line block ×3, first 2 shown]
	v_fma_f64 v[70:71], v[70:71], v[16:17], v[114:115]
	v_fma_f64 v[84:85], v[84:85], v[48:49], -v[120:121]
	v_add_f64 v[114:115], v[74:75], -v[66:67]
	v_add_f64 v[118:119], v[66:67], -v[74:75]
	v_add_f64 v[120:121], v[40:41], v[52:53]
	v_add_f64 v[124:125], v[54:55], -v[86:87]
	v_add_f64 v[96:97], v[102:103], v[104:105]
	v_fma_f64 v[38:39], v[116:117], -0.5, v[38:39]
	v_fma_f64 v[104:105], v[122:123], -0.5, v[40:41]
	v_add_f64 v[56:57], v[56:57], v[64:65]
	v_fma_f64 v[64:65], v[92:93], s[0:1], v[88:89]
	v_fma_f64 v[88:89], v[92:93], s[16:17], v[88:89]
	;; [unrolled: 1-line block ×4, first 2 shown]
	v_add_f64 v[58:59], v[58:59], v[66:67]
	v_fma_f64 v[66:67], v[44:45], s[16:17], v[98:99]
	v_fma_f64 v[98:99], v[44:45], s[0:1], v[98:99]
	v_add_f64 v[126:127], v[62:63], -v[70:71]
	v_add_f64 v[128:129], v[52:53], -v[60:61]
	v_add_f64 v[130:131], v[84:85], -v[68:69]
	v_add_f64 v[132:133], v[52:53], v[84:85]
	v_add_f64 v[100:101], v[112:113], v[114:115]
	;; [unrolled: 1-line block ×3, first 2 shown]
	v_fma_f64 v[108:109], v[110:111], s[0:1], v[38:39]
	v_fma_f64 v[38:39], v[110:111], s[16:17], v[38:39]
	;; [unrolled: 1-line block ×3, first 2 shown]
	v_add_f64 v[72:73], v[56:57], v[72:73]
	v_fma_f64 v[56:57], v[94:95], s[8:9], v[64:65]
	v_fma_f64 v[64:65], v[94:95], s[18:19], v[88:89]
	;; [unrolled: 1-line block ×4, first 2 shown]
	v_add_f64 v[74:75], v[58:59], v[74:75]
	v_fma_f64 v[58:59], v[110:111], s[8:9], v[98:99]
	v_fma_f64 v[66:67], v[110:111], s[18:19], v[66:67]
	;; [unrolled: 1-line block ×4, first 2 shown]
	v_fma_f64 v[40:41], v[132:133], -0.5, v[40:41]
	v_fma_f64 v[88:89], v[96:97], s[10:11], v[88:89]
	v_fma_f64 v[96:97], v[96:97], s[10:11], v[36:37]
	v_add_f64 v[36:37], v[46:47], v[118:119]
	v_fma_f64 v[98:99], v[100:101], s[10:11], v[58:59]
	v_fma_f64 v[38:39], v[44:45], s[8:9], v[38:39]
	v_add_f64 v[44:45], v[102:103], v[68:69]
	v_fma_f64 v[46:47], v[126:127], s[8:9], v[112:113]
	v_add_f64 v[56:57], v[128:129], v[130:131]
	v_add_f64 v[58:59], v[62:63], v[70:71]
	v_fma_f64 v[90:91], v[90:91], s[10:11], v[64:65]
	v_fma_f64 v[66:67], v[100:101], s[10:11], v[66:67]
	;; [unrolled: 1-line block ×6, first 2 shown]
	v_add_f64 v[104:105], v[44:45], v[84:85]
	v_add_f64 v[36:37], v[54:55], v[86:87]
	v_fma_f64 v[38:39], v[56:57], s[10:11], v[46:47]
	v_fma_f64 v[44:45], v[58:59], -0.5, v[42:43]
	v_add_f64 v[46:47], v[52:53], -v[84:85]
	v_fma_f64 v[58:59], v[126:127], s[18:19], v[64:65]
	v_fma_f64 v[64:65], v[124:125], s[8:9], v[100:101]
	v_add_f64 v[100:101], v[42:43], v[54:55]
	v_add_f64 v[106:107], v[60:61], -v[68:69]
	v_fma_f64 v[36:37], v[36:37], -0.5, v[42:43]
	v_add_f64 v[42:43], v[60:61], -v[52:53]
	v_add_f64 v[52:53], v[68:69], -v[84:85]
	v_fma_f64 v[60:61], v[46:47], s[16:17], v[44:45]
	v_add_f64 v[68:69], v[54:55], -v[62:63]
	v_add_f64 v[84:85], v[86:87], -v[70:71]
	v_fma_f64 v[40:41], v[126:127], s[0:1], v[40:41]
	v_fma_f64 v[44:45], v[46:47], s[0:1], v[44:45]
	v_add_f64 v[100:101], v[100:101], v[62:63]
	v_fma_f64 v[108:109], v[106:107], s[0:1], v[36:37]
	v_add_f64 v[54:55], v[62:63], -v[54:55]
	v_fma_f64 v[60:61], v[106:107], s[18:19], v[60:61]
	v_add_f64 v[62:63], v[70:71], -v[86:87]
	v_add_f64 v[68:69], v[68:69], v[84:85]
	v_fma_f64 v[36:37], v[106:107], s[16:17], v[36:37]
	v_add_f64 v[42:43], v[42:43], v[52:53]
	v_fma_f64 v[40:41], v[124:125], s[18:19], v[40:41]
	v_fma_f64 v[44:45], v[106:107], s[8:9], v[44:45]
	;; [unrolled: 1-line block ×3, first 2 shown]
	v_add_f64 v[54:55], v[54:55], v[62:63]
	v_fma_f64 v[60:61], v[68:69], s[10:11], v[60:61]
	v_fma_f64 v[36:37], v[46:47], s[8:9], v[36:37]
	;; [unrolled: 1-line block ×6, first 2 shown]
	v_add_f64 v[62:63], v[100:101], v[70:71]
	v_fma_f64 v[52:53], v[54:55], s[10:11], v[52:53]
	v_mul_f64 v[44:45], v[60:61], s[8:9]
	v_fma_f64 v[54:55], v[54:55], s[10:11], v[36:37]
	v_mul_f64 v[68:69], v[46:47], s[20:21]
	v_add_f64 v[36:37], v[72:73], v[104:105]
	v_mul_f64 v[64:65], v[42:43], s[10:11]
	v_add_f64 v[62:63], v[62:63], v[86:87]
	v_mul_f64 v[58:59], v[52:53], s[0:1]
	v_fma_f64 v[70:71], v[38:39], s[20:21], v[44:45]
	v_mul_f64 v[38:39], v[38:39], s[18:19]
	v_mul_f64 v[44:45], v[56:57], s[16:17]
	;; [unrolled: 1-line block ×4, first 2 shown]
	v_fma_f64 v[106:107], v[54:55], s[0:1], -v[64:65]
	v_fma_f64 v[108:109], v[40:41], s[8:9], -v[68:69]
	v_fma_f64 v[100:101], v[56:57], s[10:11], v[58:59]
	v_add_f64 v[40:41], v[94:95], v[70:71]
	v_fma_f64 v[110:111], v[60:61], s[20:21], v[38:39]
	v_fma_f64 v[112:113], v[52:53], s[10:11], v[44:45]
	v_fma_f64 v[114:115], v[42:43], s[16:17], -v[84:85]
	v_fma_f64 v[116:117], v[46:47], s[18:19], -v[86:87]
	v_add_f64 v[38:39], v[74:75], v[62:63]
	v_add_f64 v[52:53], v[96:97], v[106:107]
	;; [unrolled: 1-line block ×8, first 2 shown]
	v_add_f64 v[60:61], v[72:73], -v[104:105]
	v_add_f64 v[62:63], v[74:75], -v[62:63]
	;; [unrolled: 1-line block ×4, first 2 shown]
	v_mul_u32_u24_e32 v72, 0x82, v134
	v_add_f64 v[68:69], v[88:89], -v[100:101]
	v_add_f64 v[70:71], v[92:93], -v[112:113]
	v_add_lshl_u32 v242, v72, v135, 4
	v_add_f64 v[84:85], v[96:97], -v[106:107]
	v_add_f64 v[96:97], v[90:91], -v[108:109]
	;; [unrolled: 1-line block ×4, first 2 shown]
	ds_write_b128 v242, v[36:39]
	ds_write_b128 v242, v[40:43] offset:208
	ds_write_b128 v242, v[44:47] offset:416
	;; [unrolled: 1-line block ×9, first 2 shown]
	s_waitcnt lgkmcnt(0)
	; wave barrier
	s_waitcnt lgkmcnt(0)
	ds_read_b128 v[92:95], v239
	ds_read_b128 v[88:91], v239 offset:832
	ds_read_b128 v[112:115], v239 offset:2080
	;; [unrolled: 1-line block ×7, first 2 shown]
	v_cmp_gt_u16_e64 s[0:1], 26, v136
	s_and_saveexec_b64 s[8:9], s[0:1]
	s_cbranch_execz .LBB0_9
; %bb.8:
	ds_read_b128 v[84:87], v239 offset:1664
	ds_read_b128 v[96:99], v239 offset:3744
	;; [unrolled: 1-line block ×4, first 2 shown]
.LBB0_9:
	s_or_b64 exec, exec, s[8:9]
	v_add_u32_e32 v36, 0x68, v136
	v_subrev_u32_e32 v37, 26, v136
	v_mad_u64_u32 v[68:69], s[8:9], v136, 48, s[2:3]
	v_cndmask_b32_e64 v36, v37, v36, s[0:1]
	v_mul_hi_i32_i24_e32 v37, 48, v36
	v_mul_i32_i24_e32 v36, 48, v36
	v_mov_b32_e32 v38, s3
	v_add_co_u32_e64 v70, s[2:3], s2, v36
	s_movk_i32 s9, 0x1000
	v_addc_co_u32_e64 v71, s[2:3], v38, v37, s[2:3]
	v_add_co_u32_e64 v72, s[2:3], s9, v68
	s_movk_i32 s8, 0x1110
	v_addc_co_u32_e64 v73, s[2:3], 0, v69, s[2:3]
	global_load_dwordx4 v[52:55], v[68:69], off offset:1904
	global_load_dwordx4 v[56:59], v[68:69], off offset:1888
	;; [unrolled: 1-line block ×3, first 2 shown]
	v_add_co_u32_e64 v68, s[2:3], s8, v68
	v_addc_co_u32_e64 v69, s[2:3], 0, v69, s[2:3]
	global_load_dwordx4 v[185:188], v[70:71], off offset:1888
	global_load_dwordx4 v[199:202], v[70:71], off offset:1872
	;; [unrolled: 1-line block ×4, first 2 shown]
	s_nop 0
	global_load_dwordx4 v[72:75], v[68:69], off offset:16
	s_nop 0
	global_load_dwordx4 v[68:71], v[68:69], off offset:32
	s_waitcnt vmcnt(8) lgkmcnt(1)
	v_mul_f64 v[132:133], v[122:123], v[54:55]
	s_waitcnt vmcnt(7)
	v_mul_f64 v[128:129], v[118:119], v[58:59]
	s_waitcnt vmcnt(6)
	v_mul_f64 v[124:125], v[114:115], v[62:63]
	v_mul_f64 v[126:127], v[112:113], v[62:63]
	;; [unrolled: 1-line block ×4, first 2 shown]
	s_waitcnt vmcnt(5)
	v_mul_f64 v[141:142], v[78:79], v[187:188]
	s_waitcnt vmcnt(4)
	v_mul_f64 v[137:138], v[98:99], v[201:202]
	v_mul_f64 v[139:140], v[96:97], v[201:202]
	;; [unrolled: 1-line block ×3, first 2 shown]
	s_waitcnt vmcnt(2) lgkmcnt(0)
	v_mul_f64 v[145:146], v[82:83], v[46:47]
	v_mul_f64 v[147:148], v[80:81], v[46:47]
	;; [unrolled: 1-line block ×4, first 2 shown]
	s_waitcnt vmcnt(1)
	v_mul_f64 v[153:154], v[106:107], v[74:75]
	v_mul_f64 v[155:156], v[104:105], v[74:75]
	s_waitcnt vmcnt(0)
	v_mul_f64 v[157:158], v[110:111], v[70:71]
	v_mul_f64 v[159:160], v[108:109], v[70:71]
	v_fma_f64 v[112:113], v[112:113], v[60:61], -v[124:125]
	v_fma_f64 v[114:115], v[114:115], v[60:61], v[126:127]
	v_fma_f64 v[116:117], v[116:117], v[56:57], -v[128:129]
	v_fma_f64 v[118:119], v[118:119], v[56:57], v[130:131]
	;; [unrolled: 2-line block ×9, first 2 shown]
	v_add_f64 v[116:117], v[92:93], -v[116:117]
	v_add_f64 v[118:119], v[94:95], -v[118:119]
	;; [unrolled: 1-line block ×12, first 2 shown]
	v_fma_f64 v[132:133], v[92:93], 2.0, -v[116:117]
	v_fma_f64 v[134:135], v[94:95], 2.0, -v[118:119]
	v_fma_f64 v[108:109], v[112:113], 2.0, -v[120:121]
	v_fma_f64 v[110:111], v[114:115], 2.0, -v[122:123]
	v_add_f64 v[80:81], v[116:117], -v[122:123]
	v_add_f64 v[82:83], v[118:119], v[120:121]
	v_fma_f64 v[120:121], v[84:85], 2.0, -v[76:77]
	v_fma_f64 v[122:123], v[86:87], 2.0, -v[78:79]
	v_fma_f64 v[112:113], v[96:97], 2.0, -v[124:125]
	v_fma_f64 v[114:115], v[98:99], 2.0, -v[126:127]
	v_add_f64 v[96:97], v[76:77], -v[126:127]
	v_add_f64 v[98:99], v[78:79], v[124:125]
	;; [unrolled: 6-line block ×3, first 2 shown]
	v_add_f64 v[88:89], v[132:133], -v[108:109]
	v_add_f64 v[90:91], v[134:135], -v[110:111]
	;; [unrolled: 1-line block ×6, first 2 shown]
	v_fma_f64 v[84:85], v[116:117], 2.0, -v[80:81]
	v_fma_f64 v[86:87], v[118:119], 2.0, -v[82:83]
	;; [unrolled: 1-line block ×12, first 2 shown]
	ds_write_b128 v239, v[80:83] offset:6240
	ds_write_b128 v239, v[84:87] offset:2080
	;; [unrolled: 1-line block ×5, first 2 shown]
	ds_write_b128 v239, v[76:79]
	ds_write_b128 v239, v[116:119] offset:832
	ds_write_b128 v239, v[92:95] offset:7072
	s_and_saveexec_b64 s[2:3], s[0:1]
	s_cbranch_execz .LBB0_11
; %bb.10:
	ds_write_b128 v239, v[120:123] offset:1664
	ds_write_b128 v239, v[104:107] offset:3744
	;; [unrolled: 1-line block ×4, first 2 shown]
.LBB0_11:
	s_or_b64 exec, exec, s[2:3]
	s_waitcnt lgkmcnt(0)
	; wave barrier
	s_waitcnt lgkmcnt(0)
	s_and_saveexec_b64 s[8:9], vcc
	s_cbranch_execz .LBB0_13
; %bb.12:
	s_add_u32 s10, s14, 0x2080
	s_addc_u32 s11, s15, 0
	ds_read_b128 v[124:127], v239
	global_load_dwordx4 v[128:131], v239, s[10:11]
	v_add_co_u32_e64 v36, s[2:3], s10, v239
	v_mov_b32_e32 v37, s11
	v_addc_co_u32_e64 v37, s[2:3], 0, v37, s[2:3]
	s_movk_i32 s2, 0x1000
	v_add_co_u32_e64 v137, s[2:3], s2, v36
	v_addc_co_u32_e64 v138, s[2:3], 0, v37, s[2:3]
	v_or_b32_e32 v36, 0x1400, v239
	s_waitcnt vmcnt(0) lgkmcnt(0)
	v_mul_f64 v[132:133], v[126:127], v[130:131]
	v_fma_f64 v[132:133], v[124:125], v[128:129], -v[132:133]
	v_mul_f64 v[124:125], v[124:125], v[130:131]
	v_fma_f64 v[134:135], v[126:127], v[128:129], v[124:125]
	ds_read_b128 v[124:127], v239 offset:640
	global_load_dwordx4 v[128:131], v239, s[10:11] offset:640
	ds_write_b128 v239, v[132:135]
	s_waitcnt vmcnt(0) lgkmcnt(1)
	v_mul_f64 v[132:133], v[126:127], v[130:131]
	v_fma_f64 v[132:133], v[124:125], v[128:129], -v[132:133]
	v_mul_f64 v[124:125], v[124:125], v[130:131]
	v_fma_f64 v[134:135], v[126:127], v[128:129], v[124:125]
	ds_read_b128 v[124:127], v239 offset:1280
	global_load_dwordx4 v[128:131], v239, s[10:11] offset:1280
	ds_write_b128 v239, v[132:135] offset:640
	s_waitcnt vmcnt(0) lgkmcnt(1)
	v_mul_f64 v[132:133], v[126:127], v[130:131]
	v_fma_f64 v[132:133], v[124:125], v[128:129], -v[132:133]
	v_mul_f64 v[124:125], v[124:125], v[130:131]
	v_fma_f64 v[134:135], v[126:127], v[128:129], v[124:125]
	ds_read_b128 v[124:127], v239 offset:1920
	global_load_dwordx4 v[128:131], v239, s[10:11] offset:1920
	ds_write_b128 v239, v[132:135] offset:1280
	;; [unrolled: 8-line block ×5, first 2 shown]
	s_waitcnt vmcnt(0) lgkmcnt(1)
	v_mul_f64 v[132:133], v[126:127], v[130:131]
	v_fma_f64 v[132:133], v[124:125], v[128:129], -v[132:133]
	v_mul_f64 v[124:125], v[124:125], v[130:131]
	v_fma_f64 v[134:135], v[126:127], v[128:129], v[124:125]
	global_load_dwordx4 v[128:131], v[137:138], off offset:384
	ds_read_b128 v[124:127], v239 offset:4480
	ds_write_b128 v239, v[132:135] offset:3840
	s_waitcnt vmcnt(0) lgkmcnt(1)
	v_mul_f64 v[132:133], v[126:127], v[130:131]
	v_fma_f64 v[132:133], v[124:125], v[128:129], -v[132:133]
	v_mul_f64 v[124:125], v[124:125], v[130:131]
	v_fma_f64 v[134:135], v[126:127], v[128:129], v[124:125]
	global_load_dwordx4 v[128:131], v36, s[10:11]
	ds_read_b128 v[124:127], v239 offset:5120
	ds_write_b128 v239, v[132:135] offset:4480
	s_waitcnt vmcnt(0) lgkmcnt(1)
	v_mul_f64 v[132:133], v[126:127], v[130:131]
	v_fma_f64 v[132:133], v[124:125], v[128:129], -v[132:133]
	v_mul_f64 v[124:125], v[124:125], v[130:131]
	v_fma_f64 v[134:135], v[126:127], v[128:129], v[124:125]
	global_load_dwordx4 v[128:131], v[137:138], off offset:1664
	ds_read_b128 v[124:127], v239 offset:5760
	ds_write_b128 v239, v[132:135] offset:5120
	s_waitcnt vmcnt(0) lgkmcnt(1)
	v_mul_f64 v[132:133], v[126:127], v[130:131]
	v_fma_f64 v[132:133], v[124:125], v[128:129], -v[132:133]
	v_mul_f64 v[124:125], v[124:125], v[130:131]
	v_fma_f64 v[134:135], v[126:127], v[128:129], v[124:125]
	global_load_dwordx4 v[128:131], v[137:138], off offset:2304
	;; [unrolled: 8-line block ×4, first 2 shown]
	ds_read_b128 v[124:127], v239 offset:7680
	ds_write_b128 v239, v[132:135] offset:7040
	s_waitcnt vmcnt(0) lgkmcnt(1)
	v_mul_f64 v[132:133], v[126:127], v[130:131]
	v_fma_f64 v[132:133], v[124:125], v[128:129], -v[132:133]
	v_mul_f64 v[124:125], v[124:125], v[130:131]
	v_fma_f64 v[134:135], v[126:127], v[128:129], v[124:125]
	ds_write_b128 v239, v[132:135] offset:7680
.LBB0_13:
	s_or_b64 exec, exec, s[8:9]
	s_waitcnt lgkmcnt(0)
	; wave barrier
	s_waitcnt lgkmcnt(0)
	s_and_saveexec_b64 s[2:3], vcc
	s_cbranch_execz .LBB0_15
; %bb.14:
	ds_read_b128 v[76:79], v239
	ds_read_b128 v[84:87], v239 offset:640
	ds_read_b128 v[88:91], v239 offset:1280
	;; [unrolled: 1-line block ×12, first 2 shown]
.LBB0_15:
	s_or_b64 exec, exec, s[2:3]
	s_waitcnt lgkmcnt(0)
	v_add_f64 v[139:140], v[2:3], v[86:87]
	s_mov_b32 s2, 0x1ea71119
	s_mov_b32 s3, 0x3fe22d96
	v_add_f64 v[141:142], v[86:87], -v[2:3]
	v_add_f64 v[161:162], v[84:85], -v[0:1]
	v_add_f64 v[145:146], v[98:99], v[90:91]
	s_mov_b32 s10, 0x42a4c3d2
	s_mov_b32 s18, 0xb2365da1
	v_mul_f64 v[165:166], v[139:140], s[2:3]
	s_mov_b32 s11, 0xbfea55e2
	s_mov_b32 s19, 0xbfd6b1d8
	v_add_f64 v[137:138], v[0:1], v[84:85]
	v_mul_f64 v[38:39], v[141:142], s[10:11]
	v_add_f64 v[147:148], v[90:91], -v[98:99]
	v_add_f64 v[179:180], v[88:89], -v[96:97]
	v_mul_f64 v[203:204], v[145:146], s[18:19]
	v_fma_f64 v[126:127], v[161:162], s[10:11], v[165:166]
	v_add_f64 v[151:152], v[82:83], v[110:111]
	s_mov_b32 s8, 0xebaa3ed8
	s_mov_b32 s16, 0x66966769
	;; [unrolled: 1-line block ×8, first 2 shown]
	v_mul_f64 v[205:206], v[141:142], s[16:17]
	v_fma_f64 v[124:125], v[137:138], s[2:3], -v[38:39]
	v_mul_f64 v[209:210], v[139:140], s[8:9]
	v_add_f64 v[143:144], v[96:97], v[88:89]
	v_mul_f64 v[42:43], v[147:148], s[22:23]
	v_add_f64 v[126:127], v[78:79], v[126:127]
	v_fma_f64 v[134:135], v[179:180], s[22:23], v[203:204]
	v_add_f64 v[153:154], v[82:83], -v[110:111]
	v_add_f64 v[163:164], v[80:81], -v[108:109]
	v_mul_f64 v[181:182], v[151:152], s[20:21]
	v_add_f64 v[157:158], v[118:119], v[106:107]
	s_mov_b32 s28, 0x4bc48dbf
	s_mov_b32 s24, 0xd0032e0c
	;; [unrolled: 1-line block ×4, first 2 shown]
	v_add_f64 v[124:125], v[76:77], v[124:125]
	v_fma_f64 v[128:129], v[137:138], s[8:9], -v[205:206]
	v_fma_f64 v[130:131], v[161:162], s[16:17], v[209:210]
	v_fma_f64 v[132:133], v[143:144], s[18:19], -v[42:43]
	v_mul_f64 v[211:212], v[147:148], s[28:29]
	v_mul_f64 v[219:220], v[145:146], s[20:21]
	v_add_f64 v[149:150], v[80:81], v[108:109]
	v_mul_f64 v[36:37], v[153:154], s[28:29]
	v_add_f64 v[126:127], v[134:135], v[126:127]
	v_fma_f64 v[169:170], v[163:164], s[28:29], v[181:182]
	v_add_f64 v[159:160], v[118:119], -v[106:107]
	v_add_f64 v[171:172], v[116:117], -v[104:105]
	v_mul_f64 v[207:208], v[157:158], s[24:25]
	s_mov_b32 s38, 0x24c2f84
	s_mov_b32 s41, 0x3fedeba7
	;; [unrolled: 1-line block ×4, first 2 shown]
	v_add_f64 v[128:129], v[76:77], v[128:129]
	v_add_f64 v[130:131], v[78:79], v[130:131]
	;; [unrolled: 1-line block ×3, first 2 shown]
	v_fma_f64 v[132:133], v[143:144], s[20:21], -v[211:212]
	v_fma_f64 v[134:135], v[179:180], s[28:29], v[219:220]
	v_fma_f64 v[167:168], v[149:150], s[20:21], -v[36:37]
	v_mul_f64 v[217:218], v[153:154], s[40:41]
	v_mul_f64 v[223:224], v[151:152], s[18:19]
	v_add_f64 v[155:156], v[116:117], v[104:105]
	v_mul_f64 v[40:41], v[159:160], s[38:39]
	v_add_f64 v[126:127], v[169:170], v[126:127]
	v_fma_f64 v[169:170], v[171:172], s[38:39], v[207:208]
	s_mov_b32 s30, 0xe00740e9
	s_mov_b32 s31, 0x3fec55a7
	;; [unrolled: 1-line block ×4, first 2 shown]
	v_add_f64 v[128:129], v[132:133], v[128:129]
	v_add_f64 v[130:131], v[134:135], v[130:131]
	;; [unrolled: 1-line block ×3, first 2 shown]
	v_fma_f64 v[132:133], v[149:150], s[18:19], -v[217:218]
	v_fma_f64 v[134:135], v[163:164], s[40:41], v[223:224]
	v_fma_f64 v[167:168], v[155:156], s[24:25], -v[40:41]
	v_mul_f64 v[225:226], v[159:160], s[34:35]
	v_mul_f64 v[227:228], v[157:158], s[30:31]
	v_add_f64 v[126:127], v[169:170], v[126:127]
	v_add_f64 v[183:184], v[114:115], -v[122:123]
	v_add_f64 v[169:170], v[122:123], v[114:115]
	s_mov_b32 s43, 0x3fefc445
	s_mov_b32 s42, s16
	v_add_f64 v[128:129], v[132:133], v[128:129]
	v_add_f64 v[130:131], v[134:135], v[130:131]
	;; [unrolled: 1-line block ×3, first 2 shown]
	v_fma_f64 v[132:133], v[155:156], s[30:31], -v[225:226]
	v_fma_f64 v[134:135], v[171:172], s[34:35], v[227:228]
	v_add_f64 v[167:168], v[120:121], v[112:113]
	v_add_f64 v[189:190], v[112:113], -v[120:121]
	v_mul_f64 v[177:178], v[183:184], s[42:43]
	v_mul_f64 v[213:214], v[169:170], s[8:9]
	;; [unrolled: 1-line block ×4, first 2 shown]
	v_add_f64 v[193:194], v[102:103], -v[94:95]
	v_add_f64 v[173:174], v[94:95], v[102:103]
	s_mov_b32 s36, s38
	v_add_f64 v[128:129], v[132:133], v[128:129]
	v_add_f64 v[130:131], v[134:135], v[130:131]
	v_fma_f64 v[132:133], v[167:168], s[8:9], -v[177:178]
	v_fma_f64 v[134:135], v[189:190], s[42:43], v[213:214]
	v_fma_f64 v[215:216], v[167:168], s[2:3], -v[231:232]
	v_fma_f64 v[221:222], v[189:190], s[10:11], v[235:236]
	v_add_f64 v[175:176], v[92:93], v[100:101]
	v_add_f64 v[195:196], v[100:101], -v[92:93]
	v_mul_f64 v[191:192], v[193:194], s[34:35]
	v_mul_f64 v[229:230], v[173:174], s[30:31]
	;; [unrolled: 1-line block ×4, first 2 shown]
	v_add_f64 v[124:125], v[132:133], v[124:125]
	v_add_f64 v[126:127], v[134:135], v[126:127]
	;; [unrolled: 1-line block ×4, first 2 shown]
	v_fma_f64 v[128:129], v[175:176], s[30:31], -v[191:192]
	v_fma_f64 v[130:131], v[195:196], s[34:35], v[229:230]
	v_fma_f64 v[215:216], v[175:176], s[24:25], -v[233:234]
	v_fma_f64 v[221:222], v[195:196], s[36:37], v[237:238]
	s_waitcnt lgkmcnt(0)
	; wave barrier
	v_add_f64 v[128:129], v[128:129], v[124:125]
	v_add_f64 v[130:131], v[130:131], v[126:127]
	;; [unrolled: 1-line block ×4, first 2 shown]
	s_and_saveexec_b64 s[26:27], vcc
	s_cbranch_execz .LBB0_17
; %bb.16:
	v_mul_f64 v[132:133], v[137:138], s[2:3]
	v_mul_f64 v[134:135], v[143:144], s[20:21]
	;; [unrolled: 1-line block ×7, first 2 shown]
	v_add_f64 v[86:87], v[78:79], v[86:87]
	buffer_store_dword v132, off, s[48:51], 0 offset:96 ; 4-byte Folded Spill
	s_nop 0
	buffer_store_dword v133, off, s[48:51], 0 offset:100 ; 4-byte Folded Spill
	v_mul_f64 v[132:133], v[161:162], s[10:11]
	v_add_f64 v[84:85], v[76:77], v[84:85]
	v_fma_f64 v[253:254], v[145:146], s[30:31], v[243:244]
	v_fma_f64 v[240:241], v[143:144], s[30:31], -v[247:248]
	v_fma_f64 v[243:244], v[145:146], s[30:31], -v[243:244]
	v_add_f64 v[221:222], v[219:220], -v[221:222]
	v_add_f64 v[86:87], v[90:91], v[86:87]
	buffer_store_dword v132, off, s[48:51], 0 offset:128 ; 4-byte Folded Spill
	s_nop 0
	buffer_store_dword v133, off, s[48:51], 0 offset:132 ; 4-byte Folded Spill
	v_mul_f64 v[132:133], v[137:138], s[8:9]
	v_add_f64 v[84:85], v[88:89], v[84:85]
	buffer_store_dword v132, off, s[48:51], 0 offset:152 ; 4-byte Folded Spill
	s_nop 0
	buffer_store_dword v133, off, s[48:51], 0 offset:156 ; 4-byte Folded Spill
	v_mul_f64 v[132:133], v[161:162], s[16:17]
	v_add_f64 v[82:83], v[82:83], v[86:87]
	v_add_f64 v[80:81], v[80:81], v[84:85]
	buffer_store_dword v132, off, s[48:51], 0 offset:176 ; 4-byte Folded Spill
	s_nop 0
	buffer_store_dword v133, off, s[48:51], 0 offset:180 ; 4-byte Folded Spill
	v_mul_f64 v[132:133], v[143:144], s[18:19]
	v_add_f64 v[116:117], v[116:117], v[80:81]
	;; [unrolled: 6-line block ×3, first 2 shown]
	v_add_f64 v[112:113], v[112:113], v[116:117]
	v_mul_f64 v[116:117], v[193:194], s[28:29]
	buffer_store_dword v132, off, s[48:51], 0 offset:120 ; 4-byte Folded Spill
	s_nop 0
	buffer_store_dword v133, off, s[48:51], 0 offset:124 ; 4-byte Folded Spill
	buffer_store_dword v134, off, s[48:51], 0 offset:168 ; 4-byte Folded Spill
	s_nop 0
	buffer_store_dword v135, off, s[48:51], 0 offset:172 ; 4-byte Folded Spill
	v_mul_f64 v[134:135], v[149:150], s[20:21]
	v_mul_f64 v[132:133], v[161:162], s[28:29]
	v_add_f64 v[82:83], v[102:103], v[82:83]
	v_add_f64 v[100:101], v[100:101], v[112:113]
	v_mul_f64 v[112:113], v[153:154], s[16:17]
	buffer_store_dword v134, off, s[48:51], 0 offset:56 ; 4-byte Folded Spill
	s_nop 0
	buffer_store_dword v135, off, s[48:51], 0 offset:60 ; 4-byte Folded Spill
	v_mul_f64 v[134:135], v[163:164], s[28:29]
	v_fma_f64 v[245:246], v[139:140], s[20:21], v[132:133]
	v_fma_f64 v[132:133], v[139:140], s[20:21], -v[132:133]
	v_add_f64 v[82:83], v[94:95], v[82:83]
	v_add_f64 v[92:93], v[92:93], v[100:101]
	buffer_store_dword v134, off, s[48:51], 0 offset:112 ; 4-byte Folded Spill
	s_nop 0
	buffer_store_dword v135, off, s[48:51], 0 offset:116 ; 4-byte Folded Spill
	buffer_store_dword v215, off, s[48:51], 0 offset:208 ; 4-byte Folded Spill
	s_nop 0
	buffer_store_dword v216, off, s[48:51], 0 offset:212 ; 4-byte Folded Spill
	;; [unrolled: 3-line block ×3, first 2 shown]
	v_mul_f64 v[225:226], v[155:156], s[24:25]
	v_mul_f64 v[134:135], v[141:142], s[28:29]
	v_add_f64 v[245:246], v[78:79], v[245:246]
	v_mul_f64 v[215:216], v[163:164], s[40:41]
	s_mov_b32 s41, 0x3fea55e2
	buffer_store_dword v225, off, s[48:51], 0 offset:64 ; 4-byte Folded Spill
	s_nop 0
	buffer_store_dword v226, off, s[48:51], 0 offset:68 ; 4-byte Folded Spill
	v_mul_f64 v[225:226], v[171:172], s[38:39]
	v_fma_f64 v[249:250], v[137:138], s[20:21], -v[134:135]
	s_mov_b32 s40, s10
	v_add_f64 v[245:246], v[253:254], v[245:246]
	v_mul_f64 v[253:254], v[159:160], s[40:41]
	buffer_store_dword v225, off, s[48:51], 0 offset:136 ; 4-byte Folded Spill
	s_nop 0
	buffer_store_dword v226, off, s[48:51], 0 offset:140 ; 4-byte Folded Spill
	v_mul_f64 v[225:226], v[155:156], s[30:31]
	buffer_store_dword v165, off, s[48:51], 0 offset:184 ; 4-byte Folded Spill
	s_nop 0
	buffer_store_dword v166, off, s[48:51], 0 offset:188 ; 4-byte Folded Spill
	buffer_store_dword v229, off, s[48:51], 0 offset:160 ; 4-byte Folded Spill
	s_nop 0
	buffer_store_dword v230, off, s[48:51], 0 offset:164 ; 4-byte Folded Spill
	;; [unrolled: 3-line block ×3, first 2 shown]
	v_mul_f64 v[165:166], v[153:154], s[36:37]
	buffer_store_dword v225, off, s[48:51], 0 offset:216 ; 4-byte Folded Spill
	s_nop 0
	buffer_store_dword v226, off, s[48:51], 0 offset:220 ; 4-byte Folded Spill
	buffer_store_dword v181, off, s[48:51], 0 offset:144 ; 4-byte Folded Spill
	s_nop 0
	buffer_store_dword v182, off, s[48:51], 0 offset:148 ; 4-byte Folded Spill
	;; [unrolled: 3-line block ×3, first 2 shown]
	buffer_store_dword v187, off, s[48:51], 0 offset:16 ; 4-byte Folded Spill
	buffer_store_dword v188, off, s[48:51], 0 offset:20 ; 4-byte Folded Spill
	;; [unrolled: 1-line block ×3, first 2 shown]
	s_nop 0
	buffer_store_dword v192, off, s[48:51], 0 offset:92 ; 4-byte Folded Spill
	buffer_store_dword v197, off, s[48:51], 0 ; 4-byte Folded Spill
	s_nop 0
	buffer_store_dword v198, off, s[48:51], 0 offset:4 ; 4-byte Folded Spill
	v_add_f64 v[249:250], v[76:77], v[249:250]
	v_fma_f64 v[181:182], v[149:150], s[24:25], -v[165:166]
	v_fma_f64 v[187:188], v[155:156], s[2:3], -v[253:254]
	v_mul_f64 v[229:230], v[171:172], s[40:41]
	v_fma_f64 v[177:178], v[151:152], s[24:25], v[251:252]
	v_add_f64 v[132:133], v[78:79], v[132:133]
	v_fma_f64 v[251:252], v[151:152], s[24:25], -v[251:252]
	v_fma_f64 v[165:166], v[149:150], s[24:25], v[165:166]
	v_add_f64 v[240:241], v[240:241], v[249:250]
	v_mul_f64 v[249:250], v[189:190], s[22:23]
	v_mov_b32_e32 v226, v43
	v_fma_f64 v[185:186], v[157:158], s[2:3], v[229:230]
	v_add_f64 v[177:178], v[177:178], v[245:246]
	v_mul_f64 v[245:246], v[183:184], s[22:23]
	v_add_f64 v[132:133], v[243:244], v[132:133]
	v_fma_f64 v[229:230], v[157:158], s[2:3], -v[229:230]
	v_add_f64 v[181:182], v[181:182], v[240:241]
	v_mul_f64 v[240:241], v[195:196], s[42:43]
	v_fma_f64 v[191:192], v[169:170], s[18:19], v[249:250]
	v_mov_b32_e32 v225, v42
	v_add_f64 v[177:178], v[185:186], v[177:178]
	v_mul_f64 v[185:186], v[193:194], s[42:43]
	v_add_f64 v[132:133], v[251:252], v[132:133]
	v_fma_f64 v[251:252], v[137:138], s[20:21], v[134:135]
	v_add_f64 v[181:182], v[187:188], v[181:182]
	v_mul_f64 v[187:188], v[171:172], s[34:35]
	buffer_store_dword v187, off, s[48:51], 0 offset:240 ; 4-byte Folded Spill
	s_nop 0
	buffer_store_dword v188, off, s[48:51], 0 offset:244 ; 4-byte Folded Spill
	v_mul_f64 v[187:188], v[167:168], s[8:9]
	buffer_store_dword v187, off, s[48:51], 0 offset:104 ; 4-byte Folded Spill
	s_nop 0
	buffer_store_dword v188, off, s[48:51], 0 offset:108 ; 4-byte Folded Spill
	v_mul_f64 v[187:188], v[189:190], s[42:43]
	v_fma_f64 v[243:244], v[173:174], s[8:9], v[240:241]
	v_add_f64 v[177:178], v[191:192], v[177:178]
	v_fma_f64 v[191:192], v[175:176], s[8:9], -v[185:186]
	buffer_store_dword v187, off, s[48:51], 0 offset:192 ; 4-byte Folded Spill
	s_nop 0
	buffer_store_dword v188, off, s[48:51], 0 offset:196 ; 4-byte Folded Spill
	v_mul_f64 v[187:188], v[167:168], s[2:3]
	v_add_f64 v[134:135], v[243:244], v[177:178]
	v_add_f64 v[229:230], v[229:230], v[132:133]
	v_fma_f64 v[177:178], v[169:170], s[18:19], -v[249:250]
	v_mul_f64 v[243:244], v[161:162], s[36:37]
	buffer_store_dword v187, off, s[48:51], 0 offset:232 ; 4-byte Folded Spill
	s_nop 0
	buffer_store_dword v188, off, s[48:51], 0 offset:236 ; 4-byte Folded Spill
	v_mul_f64 v[249:250], v[179:180], s[42:43]
	v_mov_b32_e32 v187, v211
	v_add_f64 v[177:178], v[177:178], v[229:230]
	v_mul_f64 v[229:230], v[147:148], s[42:43]
	s_mov_b32 s43, 0x3fcea1e5
	s_mov_b32 s42, s28
	v_mov_b32_e32 v188, v212
	v_fma_f64 v[240:241], v[173:174], s[8:9], -v[240:241]
	v_fma_f64 v[185:186], v[175:176], s[8:9], v[185:186]
	v_add_f64 v[215:216], v[223:224], -v[215:216]
	v_add_f64 v[82:83], v[122:123], v[82:83]
	v_add_f64 v[92:93], v[120:121], v[92:93]
	v_mov_b32_e32 v255, v198
	v_fma_f64 v[197:198], v[167:168], s[18:19], -v[245:246]
	v_add_f64 v[82:83], v[106:107], v[82:83]
	v_add_f64 v[92:93], v[104:105], v[92:93]
	;; [unrolled: 1-line block ×3, first 2 shown]
	v_mov_b32_e32 v197, v205
	v_mov_b32_e32 v198, v206
	v_fma_f64 v[205:206], v[143:144], s[8:9], -v[229:230]
	v_add_f64 v[82:83], v[110:111], v[82:83]
	v_add_f64 v[92:93], v[108:109], v[92:93]
	;; [unrolled: 1-line block ×3, first 2 shown]
	v_mul_f64 v[191:192], v[141:142], s[36:37]
	buffer_store_dword v132, off, s[48:51], 0 offset:40 ; 4-byte Folded Spill
	s_nop 0
	buffer_store_dword v133, off, s[48:51], 0 offset:44 ; 4-byte Folded Spill
	buffer_store_dword v134, off, s[48:51], 0 offset:48 ; 4-byte Folded Spill
	;; [unrolled: 1-line block ×4, first 2 shown]
	s_nop 0
	buffer_store_dword v200, off, s[48:51], 0 offset:28 ; 4-byte Folded Spill
	buffer_store_dword v201, off, s[48:51], 0 offset:32 ; 4-byte Folded Spill
	;; [unrolled: 1-line block ×3, first 2 shown]
	v_fma_f64 v[181:182], v[143:144], s[30:31], v[247:248]
	v_add_f64 v[247:248], v[76:77], v[251:252]
	v_fma_f64 v[251:252], v[139:140], s[24:25], v[243:244]
	v_fma_f64 v[199:200], v[137:138], s[24:25], -v[191:192]
	buffer_store_dword v203, off, s[48:51], 0 offset:264 ; 4-byte Folded Spill
	s_nop 0
	buffer_store_dword v204, off, s[48:51], 0 offset:268 ; 4-byte Folded Spill
	v_fma_f64 v[201:202], v[145:146], s[8:9], v[249:250]
	v_mul_f64 v[203:204], v[153:154], s[10:11]
	buffer_store_dword v207, off, s[48:51], 0 offset:248 ; 4-byte Folded Spill
	s_nop 0
	buffer_store_dword v208, off, s[48:51], 0 offset:252 ; 4-byte Folded Spill
	v_mov_b32_e32 v132, v209
	v_add_f64 v[181:182], v[181:182], v[247:248]
	v_mul_f64 v[247:248], v[163:164], s[10:11]
	v_add_f64 v[251:252], v[78:79], v[251:252]
	v_add_f64 v[199:200], v[76:77], v[199:200]
	v_mul_f64 v[207:208], v[171:172], s[42:43]
	v_mov_b32_e32 v133, v210
	v_fma_f64 v[211:212], v[149:150], s[2:3], -v[203:204]
	buffer_store_dword v213, off, s[48:51], 0 offset:256 ; 4-byte Folded Spill
	s_nop 0
	buffer_store_dword v214, off, s[48:51], 0 offset:260 ; 4-byte Folded Spill
	v_add_f64 v[165:166], v[165:166], v[181:182]
	v_fma_f64 v[209:210], v[151:152], s[2:3], v[247:248]
	v_add_f64 v[201:202], v[201:202], v[251:252]
	v_fma_f64 v[251:252], v[155:156], s[2:3], v[253:254]
	v_mul_f64 v[253:254], v[159:160], s[42:43]
	v_add_f64 v[199:200], v[205:206], v[199:200]
	v_mul_f64 v[181:182], v[189:190], s[34:35]
	v_fma_f64 v[205:206], v[157:158], s[20:21], v[207:208]
	v_fma_f64 v[243:244], v[139:140], s[24:25], -v[243:244]
	v_mov_b32_e32 v134, v217
	v_add_f64 v[201:202], v[209:210], v[201:202]
	v_fma_f64 v[209:210], v[167:168], s[18:19], v[245:246]
	v_mul_f64 v[245:246], v[183:184], s[34:35]
	v_fma_f64 v[213:214], v[155:156], s[20:21], -v[253:254]
	v_add_f64 v[199:200], v[211:212], v[199:200]
	v_add_f64 v[165:166], v[251:252], v[165:166]
	buffer_store_dword v36, off, s[48:51], 0 offset:224 ; 4-byte Folded Spill
	s_nop 0
	buffer_store_dword v37, off, s[48:51], 0 offset:228 ; 4-byte Folded Spill
	buffer_store_dword v38, off, s[48:51], 0 offset:280 ; 4-byte Folded Spill
	s_nop 0
	buffer_store_dword v39, off, s[48:51], 0 offset:284 ; 4-byte Folded Spill
	v_mul_f64 v[251:252], v[195:196], s[22:23]
	v_fma_f64 v[211:212], v[169:170], s[30:31], v[181:182]
	v_add_f64 v[201:202], v[205:206], v[201:202]
	v_mul_f64 v[205:206], v[193:194], s[22:23]
	v_mov_b32_e32 v135, v218
	v_fma_f64 v[217:218], v[167:168], s[30:31], -v[245:246]
	v_add_f64 v[199:200], v[213:214], v[199:200]
	v_add_f64 v[165:166], v[209:210], v[165:166]
	v_fma_f64 v[38:39], v[145:146], s[8:9], -v[249:250]
	v_add_f64 v[243:244], v[78:79], v[243:244]
	v_fma_f64 v[213:214], v[173:174], s[18:19], v[251:252]
	v_add_f64 v[201:202], v[211:212], v[201:202]
	v_fma_f64 v[36:37], v[175:176], s[18:19], -v[205:206]
	v_add_f64 v[211:212], v[240:241], v[177:178]
	v_add_f64 v[199:200], v[217:218], v[199:200]
	v_fma_f64 v[177:178], v[137:138], s[24:25], v[191:192]
	v_add_f64 v[209:210], v[185:186], v[165:166]
	v_mul_f64 v[165:166], v[161:162], s[22:23]
	v_fma_f64 v[185:186], v[151:152], s[2:3], -v[247:248]
	v_add_f64 v[38:39], v[38:39], v[243:244]
	v_add_f64 v[249:250], v[213:214], v[201:202]
	v_fma_f64 v[203:204], v[149:150], s[2:3], v[203:204]
	v_add_f64 v[247:248], v[36:37], v[199:200]
	v_fma_f64 v[36:37], v[143:144], s[8:9], v[229:230]
	v_add_f64 v[177:178], v[76:77], v[177:178]
	v_mul_f64 v[199:200], v[179:180], s[38:39]
	v_fma_f64 v[201:202], v[139:140], s[18:19], v[165:166]
	v_add_f64 v[38:39], v[185:186], v[38:39]
	v_mul_f64 v[185:186], v[141:142], s[22:23]
	v_mul_f64 v[217:218], v[147:148], s[38:39]
	v_fma_f64 v[191:192], v[173:174], s[18:19], -v[251:252]
	v_fma_f64 v[207:208], v[157:158], s[20:21], -v[207:208]
	v_add_f64 v[36:37], v[36:37], v[177:178]
	v_mul_f64 v[177:178], v[163:164], s[34:35]
	v_fma_f64 v[213:214], v[145:146], s[24:25], v[199:200]
	v_add_f64 v[201:202], v[78:79], v[201:202]
	v_fma_f64 v[229:230], v[137:138], s[18:19], -v[185:186]
	v_fma_f64 v[240:241], v[155:156], s[20:21], v[253:254]
	v_fma_f64 v[251:252], v[143:144], s[24:25], -v[217:218]
	buffer_store_dword v40, off, s[48:51], 0 offset:272 ; 4-byte Folded Spill
	s_nop 0
	buffer_store_dword v41, off, s[48:51], 0 offset:276 ; 4-byte Folded Spill
	v_add_f64 v[36:37], v[203:204], v[36:37]
	v_mul_f64 v[203:204], v[171:172], s[16:17]
	v_fma_f64 v[243:244], v[151:152], s[30:31], v[177:178]
	v_add_f64 v[201:202], v[213:214], v[201:202]
	v_mul_f64 v[213:214], v[153:154], s[34:35]
	v_add_f64 v[229:230], v[76:77], v[229:230]
	v_fma_f64 v[181:182], v[169:170], s[30:31], -v[181:182]
	v_add_f64 v[38:39], v[207:208], v[38:39]
	v_fma_f64 v[207:208], v[167:168], s[30:31], v[245:246]
	v_add_f64 v[36:37], v[240:241], v[36:37]
	v_mul_f64 v[240:241], v[189:190], s[42:43]
	v_fma_f64 v[245:246], v[157:158], s[8:9], v[203:204]
	v_add_f64 v[201:202], v[243:244], v[201:202]
	v_fma_f64 v[243:244], v[149:150], s[30:31], -v[213:214]
	v_add_f64 v[229:230], v[251:252], v[229:230]
	v_mul_f64 v[40:41], v[159:160], s[16:17]
	v_add_f64 v[38:39], v[181:182], v[38:39]
	v_fma_f64 v[42:43], v[175:176], s[18:19], v[205:206]
	v_add_f64 v[36:37], v[207:208], v[36:37]
	v_fma_f64 v[205:206], v[169:170], s[20:21], v[240:241]
	v_add_f64 v[201:202], v[245:246], v[201:202]
	v_fma_f64 v[165:166], v[139:140], s[18:19], -v[165:166]
	v_add_f64 v[207:208], v[243:244], v[229:230]
	v_fma_f64 v[229:230], v[155:156], s[8:9], -v[40:41]
	;; [unrolled: 2-line block ×3, first 2 shown]
	v_add_f64 v[251:252], v[42:43], v[36:37]
	v_mul_f64 v[42:43], v[195:196], s[40:41]
	v_add_f64 v[191:192], v[205:206], v[201:202]
	v_add_f64 v[165:166], v[78:79], v[165:166]
	v_fma_f64 v[177:178], v[151:152], s[30:31], -v[177:178]
	v_add_f64 v[205:206], v[229:230], v[207:208]
	buffer_load_dword v229, off, s[48:51], 0 offset:176 ; 4-byte Folded Reload
	buffer_load_dword v230, off, s[48:51], 0 offset:180 ; 4-byte Folded Reload
	v_fma_f64 v[203:204], v[157:158], s[8:9], -v[203:204]
	v_mul_f64 v[36:37], v[183:184], s[42:43]
	v_fma_f64 v[243:244], v[173:174], s[2:3], v[42:43]
	v_fma_f64 v[185:186], v[137:138], s[18:19], v[185:186]
	v_add_f64 v[165:166], v[199:200], v[165:166]
	v_mul_f64 v[199:200], v[193:194], s[40:41]
	v_fma_f64 v[217:218], v[143:144], s[24:25], v[217:218]
	v_mul_f64 v[181:182], v[189:190], s[10:11]
	v_fma_f64 v[42:43], v[173:174], s[2:3], -v[42:43]
	v_fma_f64 v[207:208], v[167:168], s[20:21], -v[36:37]
	v_add_f64 v[219:220], v[243:244], v[191:192]
	v_add_f64 v[185:186], v[76:77], v[185:186]
	;; [unrolled: 1-line block ×3, first 2 shown]
	v_fma_f64 v[243:244], v[175:176], s[2:3], -v[199:200]
	v_fma_f64 v[213:214], v[149:150], s[30:31], v[213:214]
	v_add_f64 v[181:182], v[235:236], -v[181:182]
	v_fma_f64 v[40:41], v[155:156], s[8:9], v[40:41]
	v_add_f64 v[205:206], v[207:208], v[205:206]
	v_mul_f64 v[207:208], v[195:196], s[36:37]
	v_add_f64 v[185:186], v[217:218], v[185:186]
	v_add_f64 v[165:166], v[203:204], v[165:166]
	v_fma_f64 v[217:218], v[169:170], s[20:21], -v[240:241]
	v_mul_f64 v[201:202], v[195:196], s[34:35]
	s_mov_b32 s35, 0xbfddbe06
	v_mul_f64 v[161:162], v[161:162], s[34:35]
	v_mul_f64 v[114:115], v[141:142], s[34:35]
	;; [unrolled: 1-line block ×3, first 2 shown]
	v_add_f64 v[185:186], v[213:214], v[185:186]
	v_mul_f64 v[147:148], v[147:148], s[10:11]
	v_add_f64 v[165:166], v[217:218], v[165:166]
	v_add_f64 v[217:218], v[243:244], v[205:206]
	v_mul_f64 v[163:164], v[163:164], s[16:17]
	v_mul_f64 v[171:172], v[171:172], s[22:23]
	v_fma_f64 v[102:103], v[137:138], s[30:31], v[114:115]
	v_fma_f64 v[114:115], v[137:138], s[30:31], -v[114:115]
	v_add_f64 v[40:41], v[40:41], v[185:186]
	v_add_f64 v[185:186], v[237:238], -v[207:208]
	v_fma_f64 v[137:138], v[145:146], s[2:3], -v[179:180]
	v_mul_f64 v[159:160], v[159:160], s[22:23]
	v_fma_f64 v[100:101], v[143:144], s[2:3], -v[147:148]
	v_mul_f64 v[38:39], v[175:176], s[30:31]
	v_add_f64 v[94:95], v[76:77], v[102:103]
	v_fma_f64 v[102:103], v[151:152], s[8:9], -v[163:164]
	v_mul_f64 v[141:142], v[183:184], s[36:37]
	v_fma_f64 v[36:37], v[167:168], s[20:21], v[36:37]
	v_mul_f64 v[245:246], v[175:176], s[24:25]
	v_fma_f64 v[104:105], v[155:156], s[18:19], -v[159:160]
	v_add_f64 v[82:83], v[98:99], v[82:83]
	v_add_f64 v[92:93], v[96:97], v[92:93]
	v_fma_f64 v[98:99], v[175:176], s[20:21], -v[116:117]
	v_add_f64 v[36:37], v[36:37], v[40:41]
	v_add_f64 v[40:41], v[245:246], v[233:234]
	;; [unrolled: 1-line block ×4, first 2 shown]
	s_waitcnt vmcnt(0)
	v_add_f64 v[229:230], v[132:133], -v[229:230]
	buffer_load_dword v132, off, s[48:51], 0 offset:152 ; 4-byte Folded Reload
	buffer_load_dword v133, off, s[48:51], 0 offset:156 ; 4-byte Folded Reload
	v_add_f64 v[229:230], v[78:79], v[229:230]
	v_add_f64 v[221:222], v[221:222], v[229:230]
	;; [unrolled: 1-line block ×3, first 2 shown]
	s_waitcnt vmcnt(0)
	v_add_f64 v[191:192], v[132:133], v[197:198]
	buffer_load_dword v132, off, s[48:51], 0 offset:168 ; 4-byte Folded Reload
	buffer_load_dword v133, off, s[48:51], 0 offset:172 ; 4-byte Folded Reload
	v_add_f64 v[191:192], v[76:77], v[191:192]
	s_waitcnt vmcnt(0)
	v_add_f64 v[177:178], v[132:133], v[187:188]
	buffer_load_dword v132, off, s[48:51], 0 offset:240 ; 4-byte Folded Reload
	buffer_load_dword v133, off, s[48:51], 0 offset:244 ; 4-byte Folded Reload
	v_add_f64 v[177:178], v[177:178], v[191:192]
	s_waitcnt vmcnt(0)
	v_add_f64 v[187:188], v[227:228], -v[132:133]
	buffer_load_dword v132, off, s[48:51], 0 offset:208 ; 4-byte Folded Reload
	buffer_load_dword v133, off, s[48:51], 0 offset:212 ; 4-byte Folded Reload
	v_add_f64 v[187:188], v[187:188], v[215:216]
	v_add_f64 v[181:182], v[181:182], v[187:188]
	;; [unrolled: 1-line block ×3, first 2 shown]
	v_fma_f64 v[42:43], v[175:176], s[2:3], v[199:200]
	s_waitcnt vmcnt(0)
	v_add_f64 v[203:204], v[132:133], v[134:135]
	buffer_load_dword v132, off, s[48:51], 0 offset:200 ; 4-byte Folded Reload
	buffer_load_dword v133, off, s[48:51], 0 offset:204 ; 4-byte Folded Reload
	;; [unrolled: 1-line block ×4, first 2 shown]
	v_add_f64 v[177:178], v[203:204], v[177:178]
	v_add_f64 v[203:204], v[185:186], v[181:182]
	s_waitcnt vmcnt(0)
	v_add_f64 v[191:192], v[134:135], v[132:133]
	buffer_load_dword v132, off, s[48:51], 0 offset:232 ; 4-byte Folded Reload
	buffer_load_dword v133, off, s[48:51], 0 offset:236 ; 4-byte Folded Reload
	v_add_f64 v[177:178], v[191:192], v[177:178]
	s_waitcnt vmcnt(0)
	v_add_f64 v[197:198], v[132:133], v[231:232]
	buffer_load_dword v132, off, s[48:51], 0 offset:128 ; 4-byte Folded Reload
	buffer_load_dword v133, off, s[48:51], 0 offset:132 ; 4-byte Folded Reload
	;; [unrolled: 1-line block ×4, first 2 shown]
	v_add_f64 v[177:178], v[197:198], v[177:178]
	s_waitcnt vmcnt(0)
	v_add_f64 v[205:206], v[134:135], -v[132:133]
	buffer_load_dword v132, off, s[48:51], 0 offset:120 ; 4-byte Folded Reload
	buffer_load_dword v133, off, s[48:51], 0 offset:124 ; 4-byte Folded Reload
	;; [unrolled: 1-line block ×4, first 2 shown]
	v_add_f64 v[181:182], v[78:79], v[205:206]
	v_fma_f64 v[205:206], v[139:140], s[30:31], v[161:162]
	v_fma_f64 v[139:140], v[139:140], s[30:31], -v[161:162]
	v_add_f64 v[205:206], v[78:79], v[205:206]
	v_add_f64 v[78:79], v[78:79], v[139:140]
	v_fma_f64 v[139:140], v[143:144], s[2:3], v[147:148]
	v_add_f64 v[78:79], v[137:138], v[78:79]
	v_add_f64 v[94:95], v[139:140], v[94:95]
	;; [unrolled: 1-line block ×3, first 2 shown]
	v_fma_f64 v[102:103], v[155:156], s[18:19], v[159:160]
	s_waitcnt vmcnt(0)
	v_add_f64 v[165:166], v[134:135], -v[132:133]
	buffer_load_dword v132, off, s[48:51], 0 offset:96 ; 4-byte Folded Reload
	buffer_load_dword v133, off, s[48:51], 0 offset:100 ; 4-byte Folded Reload
	;; [unrolled: 1-line block ×4, first 2 shown]
	v_add_f64 v[165:166], v[165:166], v[181:182]
	s_waitcnt vmcnt(0)
	v_add_f64 v[185:186], v[132:133], v[134:135]
	buffer_load_dword v132, off, s[48:51], 0 offset:160 ; 4-byte Folded Reload
	buffer_load_dword v133, off, s[48:51], 0 offset:164 ; 4-byte Folded Reload
	v_add_f64 v[185:186], v[76:77], v[185:186]
	v_add_f64 v[76:77], v[76:77], v[114:115]
	v_fma_f64 v[114:115], v[149:150], s[8:9], v[112:113]
	v_fma_f64 v[112:113], v[149:150], s[8:9], -v[112:113]
	v_add_f64 v[76:77], v[100:101], v[76:77]
	v_fma_f64 v[100:101], v[157:158], s[18:19], -v[171:172]
	v_add_f64 v[94:95], v[114:115], v[94:95]
	v_add_f64 v[76:77], v[112:113], v[76:77]
	;; [unrolled: 1-line block ×3, first 2 shown]
	v_fma_f64 v[100:101], v[167:168], s[24:25], v[141:142]
	v_add_f64 v[94:95], v[102:103], v[94:95]
	v_fma_f64 v[102:103], v[167:168], s[24:25], -v[141:142]
	v_add_f64 v[76:77], v[104:105], v[76:77]
	v_add_f64 v[94:95], v[100:101], v[94:95]
	;; [unrolled: 1-line block ×3, first 2 shown]
	s_waitcnt vmcnt(0)
	v_add_f64 v[191:192], v[132:133], -v[201:202]
	buffer_load_dword v132, off, s[48:51], 0 offset:192 ; 4-byte Folded Reload
	buffer_load_dword v133, off, s[48:51], 0 offset:196 ; 4-byte Folded Reload
	;; [unrolled: 1-line block ×4, first 2 shown]
	s_waitcnt vmcnt(0)
	v_add_f64 v[197:198], v[134:135], -v[132:133]
	buffer_load_dword v132, off, s[48:51], 0 offset:112 ; 4-byte Folded Reload
	buffer_load_dword v133, off, s[48:51], 0 offset:116 ; 4-byte Folded Reload
	;; [unrolled: 1-line block ×4, first 2 shown]
	s_waitcnt vmcnt(0)
	v_add_f64 v[199:200], v[134:135], -v[132:133]
	buffer_load_dword v132, off, s[48:51], 0 offset:80 ; 4-byte Folded Reload
	buffer_load_dword v133, off, s[48:51], 0 offset:84 ; 4-byte Folded Reload
	v_add_f64 v[165:166], v[199:200], v[165:166]
	s_waitcnt vmcnt(0)
	v_add_f64 v[181:182], v[132:133], v[225:226]
	buffer_load_dword v132, off, s[48:51], 0 offset:136 ; 4-byte Folded Reload
	buffer_load_dword v133, off, s[48:51], 0 offset:140 ; 4-byte Folded Reload
	;; [unrolled: 1-line block ×4, first 2 shown]
	v_add_f64 v[181:182], v[181:182], v[185:186]
	v_fma_f64 v[185:186], v[145:146], s[2:3], v[179:180]
	v_add_f64 v[185:186], v[185:186], v[205:206]
	s_waitcnt vmcnt(0)
	v_add_f64 v[201:202], v[134:135], -v[132:133]
	buffer_load_dword v132, off, s[48:51], 0 offset:56 ; 4-byte Folded Reload
	buffer_load_dword v133, off, s[48:51], 0 offset:60 ; 4-byte Folded Reload
	;; [unrolled: 1-line block ×4, first 2 shown]
	v_add_f64 v[88:89], v[201:202], v[165:166]
	v_add_f64 v[201:202], v[40:41], v[177:178]
	;; [unrolled: 1-line block ×4, first 2 shown]
	s_waitcnt vmcnt(0)
	v_add_f64 v[199:200], v[132:133], v[134:135]
	buffer_load_dword v90, off, s[48:51], 0 offset:64 ; 4-byte Folded Reload
	buffer_load_dword v91, off, s[48:51], 0 offset:68 ; 4-byte Folded Reload
	;; [unrolled: 1-line block ×4, first 2 shown]
	buffer_load_dword v197, off, s[48:51], 0 ; 4-byte Folded Reload
	buffer_load_dword v198, off, s[48:51], 0 offset:4 ; 4-byte Folded Reload
	buffer_load_dword v86, off, s[48:51], 0 offset:72 ; 4-byte Folded Reload
	;; [unrolled: 1-line block ×7, first 2 shown]
	v_add_f64 v[165:166], v[199:200], v[181:182]
	v_fma_f64 v[181:182], v[151:152], s[8:9], v[163:164]
	v_add_f64 v[181:182], v[181:182], v[185:186]
	v_add_f64 v[185:186], v[42:43], v[36:37]
	v_lshlrev_b32_e32 v36, 4, v255
	s_waitcnt vmcnt(8)
	v_add_f64 v[90:91], v[90:91], v[132:133]
	s_waitcnt vmcnt(2)
	v_add_f64 v[86:87], v[88:89], v[86:87]
	;; [unrolled: 2-line block ×3, first 2 shown]
	v_mul_f64 v[84:85], v[195:196], s[28:29]
	v_add_f64 v[88:89], v[90:91], v[165:166]
	v_mul_f64 v[90:91], v[189:190], s[36:37]
	v_fma_f64 v[165:166], v[157:158], s[18:19], v[171:172]
	v_fma_f64 v[104:105], v[173:174], s[20:21], -v[84:85]
	v_fma_f64 v[96:97], v[173:174], s[20:21], v[84:85]
	v_add_f64 v[86:87], v[86:87], v[88:89]
	v_fma_f64 v[88:89], v[169:170], s[24:25], v[90:91]
	v_fma_f64 v[90:91], v[169:170], s[24:25], -v[90:91]
	v_add_f64 v[118:119], v[165:166], v[181:182]
	v_add_f64 v[78:79], v[90:91], v[78:79]
	v_fma_f64 v[90:91], v[175:176], s[20:21], v[116:117]
	v_add_f64 v[88:89], v[88:89], v[118:119]
	v_add_f64 v[84:85], v[104:105], v[78:79]
	;; [unrolled: 1-line block ×4, first 2 shown]
	ds_write_b128 v36, v[0:3]
	ds_write_b128 v36, v[82:85] offset:16
	ds_write_b128 v36, v[78:81] offset:32
	;; [unrolled: 1-line block ×3, first 2 shown]
	buffer_load_dword v199, off, s[48:51], 0 offset:24 ; 4-byte Folded Reload
	buffer_load_dword v200, off, s[48:51], 0 offset:28 ; 4-byte Folded Reload
	;; [unrolled: 1-line block ×4, first 2 shown]
	ds_write_b128 v36, v[185:188] offset:64
	buffer_load_dword v185, off, s[48:51], 0 offset:8 ; 4-byte Folded Reload
	buffer_load_dword v186, off, s[48:51], 0 offset:12 ; 4-byte Folded Reload
	;; [unrolled: 1-line block ×4, first 2 shown]
	ds_write_b128 v36, v[251:254] offset:80
	ds_write_b128 v36, v[209:212] offset:96
	buffer_load_dword v0, off, s[48:51], 0 offset:40 ; 4-byte Folded Reload
	buffer_load_dword v1, off, s[48:51], 0 offset:44 ; 4-byte Folded Reload
	;; [unrolled: 1-line block ×4, first 2 shown]
	v_add_f64 v[88:89], v[96:97], v[88:89]
	v_add_f64 v[86:87], v[98:99], v[76:77]
	s_waitcnt vmcnt(0)
	ds_write_b128 v36, v[0:3] offset:112
	ds_write_b128 v36, v[247:250] offset:128
	;; [unrolled: 1-line block ×6, first 2 shown]
.LBB0_17:
	s_or_b64 exec, exec, s[26:27]
	s_waitcnt lgkmcnt(0)
	; wave barrier
	s_waitcnt lgkmcnt(0)
	ds_read_b128 v[0:3], v239
	ds_read_b128 v[76:79], v239 offset:832
	ds_read_b128 v[80:83], v239 offset:1664
	;; [unrolled: 1-line block ×5, first 2 shown]
	s_waitcnt lgkmcnt(4)
	v_mul_f64 v[36:37], v[22:23], v[78:79]
	v_mul_f64 v[22:23], v[22:23], v[76:77]
	s_waitcnt lgkmcnt(3)
	v_mul_f64 v[38:39], v[14:15], v[82:83]
	v_mul_f64 v[14:15], v[14:15], v[80:81]
	ds_read_b128 v[96:99], v239 offset:4992
	ds_read_b128 v[100:103], v239 offset:5824
	s_waitcnt lgkmcnt(3)
	v_mul_f64 v[40:41], v[6:7], v[90:91]
	v_mul_f64 v[6:7], v[6:7], v[88:89]
	ds_read_b128 v[104:107], v239 offset:6656
	ds_read_b128 v[108:111], v239 offset:7488
	v_fma_f64 v[36:37], v[20:21], v[76:77], v[36:37]
	v_fma_f64 v[20:21], v[20:21], v[78:79], -v[22:23]
	v_mul_f64 v[22:23], v[10:11], v[86:87]
	v_mul_f64 v[10:11], v[10:11], v[84:85]
	v_fma_f64 v[38:39], v[12:13], v[80:81], v[38:39]
	v_fma_f64 v[12:13], v[12:13], v[82:83], -v[14:15]
	s_waitcnt lgkmcnt(4)
	v_mul_f64 v[14:15], v[34:35], v[94:95]
	s_waitcnt lgkmcnt(3)
	v_mul_f64 v[42:43], v[26:27], v[98:99]
	v_mul_f64 v[26:27], v[26:27], v[96:97]
	s_mov_b32 s8, 0x134454ff
	v_fma_f64 v[22:23], v[8:9], v[84:85], v[22:23]
	v_fma_f64 v[8:9], v[8:9], v[86:87], -v[10:11]
	v_mul_f64 v[10:11], v[34:35], v[92:93]
	v_fma_f64 v[34:35], v[4:5], v[88:89], v[40:41]
	v_add_f64 v[40:41], v[0:1], v[38:39]
	v_fma_f64 v[4:5], v[4:5], v[90:91], -v[6:7]
	v_fma_f64 v[6:7], v[32:33], v[92:93], v[14:15]
	v_fma_f64 v[14:15], v[24:25], v[96:97], v[42:43]
	s_waitcnt lgkmcnt(1)
	v_mul_f64 v[42:43], v[30:31], v[104:105]
	v_mul_f64 v[30:31], v[30:31], v[106:107]
	v_fma_f64 v[10:11], v[32:33], v[94:95], -v[10:11]
	v_fma_f64 v[24:25], v[24:25], v[98:99], -v[26:27]
	v_add_f64 v[32:33], v[40:41], v[34:35]
	v_mul_f64 v[40:41], v[18:19], v[102:103]
	v_mul_f64 v[18:19], v[18:19], v[100:101]
	v_add_f64 v[76:77], v[34:35], v[14:15]
	v_fma_f64 v[42:43], v[28:29], v[106:107], -v[42:43]
	v_fma_f64 v[28:29], v[28:29], v[104:105], v[30:31]
	s_waitcnt lgkmcnt(0)
	v_mul_f64 v[30:31], v[50:51], v[110:111]
	v_mul_f64 v[50:51], v[50:51], v[108:109]
	s_mov_b32 s9, 0xbfee6f0e
	v_fma_f64 v[26:27], v[16:17], v[100:101], v[40:41]
	v_fma_f64 v[16:17], v[16:17], v[102:103], -v[18:19]
	v_fma_f64 v[40:41], v[76:77], -0.5, v[0:1]
	v_add_f64 v[76:77], v[12:13], -v[42:43]
	v_add_f64 v[78:79], v[4:5], -v[24:25]
	v_fma_f64 v[18:19], v[48:49], v[108:109], v[30:31]
	v_fma_f64 v[30:31], v[48:49], v[110:111], -v[50:51]
	v_add_f64 v[48:49], v[38:39], v[28:29]
	v_add_f64 v[80:81], v[38:39], -v[34:35]
	v_add_f64 v[82:83], v[28:29], -v[14:15]
	s_mov_b32 s18, 0x4755a5e
	v_fma_f64 v[50:51], v[76:77], s[8:9], v[40:41]
	s_mov_b32 s3, 0x3fee6f0e
	s_mov_b32 s2, s8
	;; [unrolled: 1-line block ×3, first 2 shown]
	v_add_f64 v[32:33], v[32:33], v[14:15]
	v_fma_f64 v[40:41], v[76:77], s[2:3], v[40:41]
	v_fma_f64 v[0:1], v[48:49], -0.5, v[0:1]
	v_add_f64 v[88:89], v[2:3], v[12:13]
	v_fma_f64 v[48:49], v[78:79], s[18:19], v[50:51]
	v_add_f64 v[50:51], v[80:81], v[82:83]
	v_add_f64 v[80:81], v[4:5], v[24:25]
	s_mov_b32 s11, 0x3fe2cf23
	s_mov_b32 s10, s18
	v_add_f64 v[32:33], v[32:33], v[28:29]
	v_fma_f64 v[40:41], v[78:79], s[10:11], v[40:41]
	v_fma_f64 v[82:83], v[78:79], s[2:3], v[0:1]
	v_add_f64 v[84:85], v[34:35], -v[38:39]
	v_add_f64 v[86:87], v[14:15], -v[28:29]
	v_fma_f64 v[80:81], v[80:81], -0.5, v[2:3]
	v_add_f64 v[28:29], v[38:39], -v[28:29]
	v_fma_f64 v[0:1], v[78:79], s[8:9], v[0:1]
	v_add_f64 v[78:79], v[88:89], v[4:5]
	s_mov_b32 s16, 0x372fe950
	s_mov_b32 s17, 0x3fd3c6ef
	v_fma_f64 v[38:39], v[50:51], s[16:17], v[48:49]
	v_fma_f64 v[40:41], v[50:51], s[16:17], v[40:41]
	;; [unrolled: 1-line block ×3, first 2 shown]
	v_add_f64 v[50:51], v[84:85], v[86:87]
	v_fma_f64 v[82:83], v[28:29], s[2:3], v[80:81]
	v_add_f64 v[14:15], v[34:35], -v[14:15]
	v_add_f64 v[34:35], v[12:13], -v[4:5]
	;; [unrolled: 1-line block ×3, first 2 shown]
	v_fma_f64 v[80:81], v[28:29], s[8:9], v[80:81]
	v_add_f64 v[86:87], v[12:13], v[42:43]
	v_fma_f64 v[0:1], v[76:77], s[10:11], v[0:1]
	v_add_f64 v[76:77], v[78:79], v[24:25]
	;; [unrolled: 2-line block ×4, first 2 shown]
	v_fma_f64 v[80:81], v[14:15], s[18:19], v[80:81]
	v_fma_f64 v[2:3], v[86:87], -0.5, v[2:3]
	v_fma_f64 v[0:1], v[50:51], s[16:17], v[0:1]
	v_add_f64 v[50:51], v[76:77], v[42:43]
	v_add_f64 v[76:77], v[36:37], v[22:23]
	v_fma_f64 v[78:79], v[78:79], -0.5, v[36:37]
	v_add_f64 v[84:85], v[8:9], -v[30:31]
	v_fma_f64 v[82:83], v[34:35], s[16:17], v[82:83]
	v_fma_f64 v[80:81], v[34:35], s[16:17], v[80:81]
	;; [unrolled: 1-line block ×3, first 2 shown]
	v_add_f64 v[4:5], v[4:5], -v[12:13]
	v_add_f64 v[12:13], v[24:25], -v[42:43]
	v_fma_f64 v[2:3], v[14:15], s[2:3], v[2:3]
	v_add_f64 v[14:15], v[76:77], v[6:7]
	v_fma_f64 v[24:25], v[84:85], s[8:9], v[78:79]
	v_add_f64 v[42:43], v[10:11], -v[16:17]
	v_add_f64 v[76:77], v[22:23], -v[6:7]
	;; [unrolled: 1-line block ×3, first 2 shown]
	v_add_f64 v[88:89], v[22:23], v[18:19]
	v_fma_f64 v[34:35], v[28:29], s[10:11], v[34:35]
	v_add_f64 v[90:91], v[10:11], v[16:17]
	v_add_f64 v[4:5], v[4:5], v[12:13]
	v_fma_f64 v[2:3], v[28:29], s[18:19], v[2:3]
	v_add_f64 v[12:13], v[14:15], v[26:27]
	v_fma_f64 v[14:15], v[42:43], s[18:19], v[24:25]
	v_add_f64 v[24:25], v[76:77], v[86:87]
	v_fma_f64 v[28:29], v[88:89], -0.5, v[36:37]
	v_fma_f64 v[36:37], v[84:85], s[2:3], v[78:79]
	v_fma_f64 v[76:77], v[90:91], -0.5, v[20:21]
	v_add_f64 v[78:79], v[22:23], -v[18:19]
	v_fma_f64 v[86:87], v[4:5], s[16:17], v[34:35]
	v_fma_f64 v[2:3], v[4:5], s[16:17], v[2:3]
	v_add_f64 v[4:5], v[12:13], v[18:19]
	v_add_f64 v[12:13], v[8:9], v[30:31]
	v_add_f64 v[90:91], v[6:7], -v[26:27]
	v_add_f64 v[92:93], v[8:9], -v[10:11]
	;; [unrolled: 1-line block ×3, first 2 shown]
	v_fma_f64 v[88:89], v[78:79], s[2:3], v[76:77]
	v_fma_f64 v[34:35], v[42:43], s[2:3], v[28:29]
	;; [unrolled: 1-line block ×3, first 2 shown]
	v_add_f64 v[6:7], v[6:7], -v[22:23]
	v_fma_f64 v[12:13], v[12:13], -0.5, v[20:21]
	v_add_f64 v[20:21], v[20:21], v[8:9]
	v_add_f64 v[18:19], v[26:27], -v[18:19]
	v_fma_f64 v[22:23], v[42:43], s[8:9], v[28:29]
	v_fma_f64 v[26:27], v[90:91], s[10:11], v[88:89]
	v_add_f64 v[28:29], v[92:93], v[94:95]
	v_add_f64 v[8:9], v[10:11], -v[8:9]
	v_add_f64 v[88:89], v[16:17], -v[30:31]
	v_fma_f64 v[42:43], v[90:91], s[8:9], v[12:13]
	v_fma_f64 v[12:13], v[90:91], s[2:3], v[12:13]
	v_add_f64 v[10:11], v[20:21], v[10:11]
	v_fma_f64 v[20:21], v[78:79], s[8:9], v[76:77]
	v_fma_f64 v[34:35], v[84:85], s[18:19], v[34:35]
	v_add_f64 v[6:7], v[6:7], v[18:19]
	v_fma_f64 v[18:19], v[84:85], s[10:11], v[22:23]
	v_fma_f64 v[22:23], v[28:29], s[16:17], v[26:27]
	;; [unrolled: 1-line block ×3, first 2 shown]
	v_add_f64 v[8:9], v[8:9], v[88:89]
	v_fma_f64 v[12:13], v[78:79], s[18:19], v[12:13]
	v_add_f64 v[10:11], v[10:11], v[16:17]
	v_fma_f64 v[16:17], v[90:91], s[18:19], v[20:21]
	v_fma_f64 v[14:15], v[24:25], s[16:17], v[14:15]
	;; [unrolled: 1-line block ×5, first 2 shown]
	v_mul_f64 v[18:19], v[22:23], s[18:19]
	v_fma_f64 v[26:27], v[8:9], s[16:17], v[26:27]
	v_fma_f64 v[12:13], v[8:9], s[16:17], v[12:13]
	v_add_f64 v[30:31], v[10:11], v[30:31]
	v_fma_f64 v[10:11], v[28:29], s[16:17], v[16:17]
	s_mov_b32 s20, 0x9b97f4a8
	s_mov_b32 s21, 0x3fe9e377
	v_mul_f64 v[22:23], v[22:23], s[20:21]
	v_fma_f64 v[34:35], v[14:15], s[20:21], v[18:19]
	v_mul_f64 v[16:17], v[26:27], s[8:9]
	v_mul_f64 v[18:19], v[12:13], s[8:9]
	s_mov_b32 s9, 0xbfd3c6ef
	s_mov_b32 s8, s16
	v_mul_f64 v[26:27], v[26:27], s[16:17]
	v_mul_f64 v[28:29], v[10:11], s[18:19]
	s_mov_b32 s19, 0xbfe9e377
	s_mov_b32 s18, s20
	v_mul_f64 v[36:37], v[12:13], s[8:9]
	v_mul_f64 v[10:11], v[10:11], s[18:19]
	v_fma_f64 v[84:85], v[14:15], s[10:11], v[22:23]
	v_fma_f64 v[42:43], v[24:25], s[16:17], v[16:17]
	;; [unrolled: 1-line block ×5, first 2 shown]
	v_add_f64 v[8:9], v[32:33], v[4:5]
	v_fma_f64 v[6:7], v[6:7], s[2:3], v[36:37]
	v_fma_f64 v[36:37], v[20:21], s[10:11], v[10:11]
	v_add_f64 v[10:11], v[50:51], v[30:31]
	v_add_f64 v[12:13], v[38:39], v[34:35]
	;; [unrolled: 1-line block ×9, first 2 shown]
	v_add_f64 v[28:29], v[32:33], -v[4:5]
	v_add_f64 v[30:31], v[50:51], -v[30:31]
	;; [unrolled: 1-line block ×10, first 2 shown]
	s_waitcnt lgkmcnt(0)
	; wave barrier
	ds_write_b128 v242, v[8:11]
	ds_write_b128 v242, v[12:15] offset:208
	ds_write_b128 v242, v[16:19] offset:416
	;; [unrolled: 1-line block ×9, first 2 shown]
	s_waitcnt lgkmcnt(0)
	; wave barrier
	s_waitcnt lgkmcnt(0)
	ds_read_b128 v[8:11], v239
	ds_read_b128 v[12:15], v239 offset:832
	ds_read_b128 v[32:35], v239 offset:2080
	;; [unrolled: 1-line block ×7, first 2 shown]
	s_and_saveexec_b64 s[2:3], s[0:1]
	s_cbranch_execz .LBB0_19
; %bb.18:
	ds_read_b128 v[0:3], v239 offset:1664
	ds_read_b128 v[4:7], v239 offset:3744
	;; [unrolled: 1-line block ×4, first 2 shown]
.LBB0_19:
	s_or_b64 exec, exec, s[2:3]
	s_waitcnt lgkmcnt(5)
	v_mul_f64 v[36:37], v[62:63], v[34:35]
	s_waitcnt lgkmcnt(3)
	v_mul_f64 v[40:41], v[58:59], v[50:51]
	v_mul_f64 v[38:39], v[62:63], v[32:33]
	;; [unrolled: 1-line block ×3, first 2 shown]
	s_waitcnt lgkmcnt(1)
	v_mul_f64 v[58:59], v[54:55], v[30:31]
	v_fma_f64 v[32:33], v[60:61], v[32:33], v[36:37]
	v_fma_f64 v[36:37], v[56:57], v[48:49], v[40:41]
	v_mul_f64 v[40:41], v[54:55], v[28:29]
	v_fma_f64 v[34:35], v[60:61], v[34:35], -v[38:39]
	v_fma_f64 v[38:39], v[56:57], v[50:51], -v[42:43]
	v_mul_f64 v[42:43], v[66:67], v[18:19]
	v_mul_f64 v[48:49], v[66:67], v[16:17]
	;; [unrolled: 1-line block ×4, first 2 shown]
	s_waitcnt lgkmcnt(0)
	v_mul_f64 v[56:57], v[70:71], v[26:27]
	v_mul_f64 v[60:61], v[70:71], v[24:25]
	v_fma_f64 v[28:29], v[52:53], v[28:29], v[58:59]
	v_fma_f64 v[30:31], v[52:53], v[30:31], -v[40:41]
	v_fma_f64 v[16:17], v[64:65], v[16:17], v[42:43]
	v_fma_f64 v[18:19], v[64:65], v[18:19], -v[48:49]
	;; [unrolled: 2-line block ×4, first 2 shown]
	v_add_f64 v[36:37], v[8:9], -v[36:37]
	v_add_f64 v[38:39], v[10:11], -v[38:39]
	v_add_f64 v[28:29], v[32:33], -v[28:29]
	v_add_f64 v[30:31], v[34:35], -v[30:31]
	v_add_f64 v[40:41], v[12:13], -v[20:21]
	v_add_f64 v[42:43], v[14:15], -v[22:23]
	v_add_f64 v[22:23], v[16:17], -v[24:25]
	v_add_f64 v[20:21], v[18:19], -v[26:27]
	v_fma_f64 v[24:25], v[8:9], 2.0, -v[36:37]
	v_fma_f64 v[26:27], v[10:11], 2.0, -v[38:39]
	;; [unrolled: 1-line block ×8, first 2 shown]
	v_add_f64 v[12:13], v[36:37], v[30:31]
	v_add_f64 v[14:15], v[38:39], -v[28:29]
	v_add_f64 v[8:9], v[24:25], -v[8:9]
	;; [unrolled: 1-line block ×3, first 2 shown]
	v_add_f64 v[20:21], v[40:41], v[20:21]
	v_add_f64 v[22:23], v[42:43], -v[22:23]
	v_add_f64 v[16:17], v[32:33], -v[16:17]
	v_add_f64 v[18:19], v[34:35], -v[18:19]
	v_fma_f64 v[28:29], v[36:37], 2.0, -v[12:13]
	v_fma_f64 v[30:31], v[38:39], 2.0, -v[14:15]
	;; [unrolled: 1-line block ×8, first 2 shown]
	ds_write_b128 v239, v[24:27]
	ds_write_b128 v239, v[28:31] offset:2080
	ds_write_b128 v239, v[8:11] offset:4160
	;; [unrolled: 1-line block ×7, first 2 shown]
	s_and_saveexec_b64 s[2:3], s[0:1]
	s_cbranch_execz .LBB0_21
; %bb.20:
	v_mul_f64 v[8:9], v[187:188], v[124:125]
	v_mul_f64 v[10:11], v[201:202], v[6:7]
	;; [unrolled: 1-line block ×6, first 2 shown]
	v_fma_f64 v[8:9], v[185:186], v[126:127], -v[8:9]
	v_fma_f64 v[4:5], v[199:200], v[4:5], v[10:11]
	v_fma_f64 v[6:7], v[199:200], v[6:7], -v[12:13]
	v_fma_f64 v[10:11], v[44:45], v[130:131], -v[14:15]
	v_fma_f64 v[12:13], v[185:186], v[124:125], v[16:17]
	v_fma_f64 v[14:15], v[44:45], v[128:129], v[18:19]
	v_add_f64 v[8:9], v[2:3], -v[8:9]
	v_add_f64 v[10:11], v[6:7], -v[10:11]
	;; [unrolled: 1-line block ×4, first 2 shown]
	v_fma_f64 v[16:17], v[2:3], 2.0, -v[8:9]
	v_fma_f64 v[6:7], v[6:7], 2.0, -v[10:11]
	;; [unrolled: 1-line block ×4, first 2 shown]
	v_add_f64 v[2:3], v[8:9], -v[14:15]
	v_add_f64 v[0:1], v[12:13], v[10:11]
	v_add_f64 v[6:7], v[16:17], -v[6:7]
	v_add_f64 v[4:5], v[18:19], -v[4:5]
	v_fma_f64 v[10:11], v[8:9], 2.0, -v[2:3]
	v_fma_f64 v[8:9], v[12:13], 2.0, -v[0:1]
	;; [unrolled: 1-line block ×4, first 2 shown]
	ds_write_b128 v239, v[8:11] offset:3744
	ds_write_b128 v239, v[4:7] offset:5824
	;; [unrolled: 1-line block ×4, first 2 shown]
.LBB0_21:
	s_or_b64 exec, exec, s[2:3]
	s_waitcnt lgkmcnt(0)
	; wave barrier
	s_waitcnt lgkmcnt(0)
	s_and_b64 exec, exec, vcc
	s_cbranch_execz .LBB0_23
; %bb.22:
	global_load_dwordx4 v[0:3], v239, s[14:15]
	global_load_dwordx4 v[4:7], v239, s[14:15] offset:640
	global_load_dwordx4 v[8:11], v239, s[14:15] offset:1280
	;; [unrolled: 1-line block ×4, first 2 shown]
	ds_read_b128 v[20:23], v239
	ds_read_b128 v[24:27], v239 offset:640
	ds_read_b128 v[28:31], v239 offset:1280
	;; [unrolled: 1-line block ×5, first 2 shown]
	global_load_dwordx4 v[44:47], v239, s[14:15] offset:3200
	global_load_dwordx4 v[48:51], v239, s[14:15] offset:3840
	v_mad_u64_u32 v[68:69], s[0:1], s6, v197, 0
	v_mad_u64_u32 v[70:71], s[2:3], s4, v136, 0
	v_mov_b32_e32 v56, s15
	v_add_co_u32_e32 v57, vcc, s14, v239
	s_movk_i32 s8, 0x1000
	v_addc_co_u32_e32 v56, vcc, 0, v56, vcc
	s_mul_i32 s3, s5, 0x280
	s_mul_hi_u32 s6, s4, 0x280
	v_or_b32_e32 v88, 0x140, v136
	v_add_co_u32_e32 v72, vcc, s8, v57
	v_mov_b32_e32 v60, v69
	v_mov_b32_e32 v61, v71
	s_add_i32 s3, s6, s3
	v_lshlrev_b32_e32 v58, 4, v88
	v_addc_co_u32_e32 v73, vcc, 0, v56, vcc
	v_mad_u64_u32 v[74:75], s[6:7], s7, v197, v[60:61]
	ds_read_b128 v[52:55], v239 offset:7680
	global_load_dwordx4 v[56:59], v58, s[14:15]
	v_mad_u64_u32 v[75:76], s[6:7], s5, v136, v[61:62]
	global_load_dwordx4 v[60:63], v[72:73], off offset:384
	global_load_dwordx4 v[64:67], v[72:73], off offset:1664
	v_mov_b32_e32 v69, v74
	v_lshlrev_b64 v[68:69], 4, v[68:69]
	v_mov_b32_e32 v71, v75
	v_mov_b32_e32 v77, s13
	v_lshlrev_b64 v[70:71], 4, v[70:71]
	v_add_co_u32_e32 v90, vcc, s12, v68
	v_addc_co_u32_e32 v91, vcc, v77, v69, vcc
	v_add_co_u32_e32 v68, vcc, v90, v70
	s_mul_i32 s2, s4, 0x280
	v_addc_co_u32_e32 v69, vcc, v91, v71, vcc
	v_mov_b32_e32 v78, s3
	v_add_co_u32_e32 v70, vcc, s2, v68
	v_addc_co_u32_e32 v71, vcc, v69, v78, vcc
	v_mov_b32_e32 v79, s3
	v_add_co_u32_e32 v74, vcc, s2, v70
	v_addc_co_u32_e32 v75, vcc, v71, v79, vcc
	s_mov_b32 s0, 0x1f81f820
	s_mov_b32 s1, 0x3f5f81f8
	v_mov_b32_e32 v89, s3
	s_waitcnt vmcnt(9) lgkmcnt(6)
	v_mul_f64 v[76:77], v[22:23], v[2:3]
	v_mul_f64 v[2:3], v[20:21], v[2:3]
	s_waitcnt vmcnt(8) lgkmcnt(5)
	v_mul_f64 v[78:79], v[26:27], v[6:7]
	v_mul_f64 v[6:7], v[24:25], v[6:7]
	;; [unrolled: 3-line block ×5, first 2 shown]
	v_fma_f64 v[18:19], v[20:21], v[0:1], v[76:77]
	v_fma_f64 v[2:3], v[0:1], v[22:23], -v[2:3]
	v_fma_f64 v[20:21], v[24:25], v[4:5], v[78:79]
	v_fma_f64 v[6:7], v[4:5], v[26:27], -v[6:7]
	;; [unrolled: 2-line block ×4, first 2 shown]
	v_mul_f64 v[0:1], v[18:19], s[0:1]
	v_mul_f64 v[2:3], v[2:3], s[0:1]
	;; [unrolled: 1-line block ×4, first 2 shown]
	global_load_dwordx4 v[18:21], v[72:73], off offset:2304
	v_mul_f64 v[8:9], v[22:23], s[0:1]
	v_mul_f64 v[10:11], v[10:11], s[0:1]
	;; [unrolled: 1-line block ×4, first 2 shown]
	v_add_co_u32_e32 v26, vcc, s2, v74
	v_addc_co_u32_e32 v27, vcc, v75, v89, vcc
	global_store_dwordx4 v[68:69], v[0:3], off
	global_store_dwordx4 v[70:71], v[4:7], off
	;; [unrolled: 1-line block ×4, first 2 shown]
	global_load_dwordx4 v[4:7], v[72:73], off offset:2944
	v_fma_f64 v[22:23], v[36:37], v[16:17], v[84:85]
	global_load_dwordx4 v[12:15], v[72:73], off offset:3584
	v_fma_f64 v[16:17], v[16:17], v[38:39], -v[86:87]
	s_waitcnt vmcnt(11) lgkmcnt(1)
	v_mul_f64 v[24:25], v[42:43], v[46:47]
	v_mul_f64 v[28:29], v[40:41], v[46:47]
	ds_read_b128 v[8:11], v239 offset:3840
	v_mov_b32_e32 v34, s3
	v_add_co_u32_e32 v26, vcc, s2, v26
	v_mul_f64 v[0:1], v[22:23], s[0:1]
	v_mul_f64 v[2:3], v[16:17], s[0:1]
	v_fma_f64 v[16:17], v[40:41], v[44:45], v[24:25]
	ds_read_b128 v[22:25], v239 offset:4480
	v_fma_f64 v[28:29], v[44:45], v[42:43], -v[28:29]
	s_waitcnt vmcnt(10) lgkmcnt(1)
	v_mul_f64 v[30:31], v[10:11], v[50:51]
	v_mul_f64 v[32:33], v[8:9], v[50:51]
	v_addc_co_u32_e32 v27, vcc, v27, v34, vcc
	global_store_dwordx4 v[26:27], v[0:3], off
	v_add_co_u32_e32 v26, vcc, s2, v26
	v_mul_f64 v[0:1], v[16:17], s[0:1]
	v_mul_f64 v[2:3], v[28:29], s[0:1]
	v_fma_f64 v[8:9], v[8:9], v[48:49], v[30:31]
	v_fma_f64 v[10:11], v[48:49], v[10:11], -v[32:33]
	s_waitcnt vmcnt(9) lgkmcnt(0)
	v_mul_f64 v[16:17], v[24:25], v[62:63]
	v_addc_co_u32_e32 v27, vcc, v27, v34, vcc
	v_mul_f64 v[28:29], v[22:23], v[62:63]
	v_mov_b32_e32 v30, s3
	global_store_dwordx4 v[26:27], v[0:3], off
	v_mov_b32_e32 v32, s3
	v_mul_f64 v[0:1], v[8:9], s[0:1]
	v_mul_f64 v[2:3], v[10:11], s[0:1]
	v_fma_f64 v[8:9], v[22:23], v[60:61], v[16:17]
	v_add_co_u32_e32 v16, vcc, s2, v26
	v_addc_co_u32_e32 v17, vcc, v27, v30, vcc
	v_fma_f64 v[10:11], v[60:61], v[24:25], -v[28:29]
	ds_read_b128 v[22:25], v239 offset:5760
	global_store_dwordx4 v[16:17], v[0:3], off
	ds_read_b128 v[0:3], v239 offset:5120
	v_mad_u64_u32 v[30:31], s[6:7], s4, v88, 0
	v_mul_f64 v[8:9], v[8:9], s[0:1]
	v_add_co_u32_e32 v16, vcc, s2, v16
	s_waitcnt lgkmcnt(0)
	v_mul_f64 v[26:27], v[2:3], v[58:59]
	v_mul_f64 v[28:29], v[0:1], v[58:59]
	;; [unrolled: 1-line block ×3, first 2 shown]
	v_addc_co_u32_e32 v17, vcc, v17, v32, vcc
	s_waitcnt vmcnt(10)
	v_mul_f64 v[32:33], v[22:23], v[66:67]
	v_fma_f64 v[0:1], v[0:1], v[56:57], v[26:27]
	v_fma_f64 v[2:3], v[56:57], v[2:3], -v[28:29]
	v_mul_f64 v[27:28], v[24:25], v[66:67]
	v_mov_b32_e32 v26, v31
	global_store_dwordx4 v[16:17], v[8:11], off
	ds_read_b128 v[8:11], v239 offset:6400
	v_fma_f64 v[24:25], v[64:65], v[24:25], -v[32:33]
	v_mul_f64 v[0:1], v[0:1], s[0:1]
	v_mul_f64 v[2:3], v[2:3], s[0:1]
	v_mad_u64_u32 v[34:35], s[6:7], s5, v88, v[26:27]
	v_fma_f64 v[22:23], v[22:23], v[64:65], v[27:28]
	v_mov_b32_e32 v31, v34
	v_lshlrev_b64 v[29:30], 4, v[30:31]
	v_add_co_u32_e32 v26, vcc, v90, v29
	v_addc_co_u32_e32 v27, vcc, v91, v30, vcc
	global_store_dwordx4 v[26:27], v[0:3], off
	ds_read_b128 v[0:3], v239 offset:7040
	s_waitcnt vmcnt(11) lgkmcnt(1)
	v_mul_f64 v[26:27], v[10:11], v[20:21]
	v_mul_f64 v[28:29], v[8:9], v[20:21]
	v_mul_f64 v[20:21], v[22:23], s[0:1]
	v_mul_f64 v[22:23], v[24:25], s[0:1]
	v_mov_b32_e32 v24, 0x500
	v_mad_u64_u32 v[16:17], s[6:7], s4, v24, v[16:17]
	s_waitcnt vmcnt(6) lgkmcnt(0)
	v_mul_f64 v[24:25], v[0:1], v[6:7]
	v_fma_f64 v[8:9], v[8:9], v[18:19], v[26:27]
	v_fma_f64 v[10:11], v[18:19], v[10:11], -v[28:29]
	v_mul_f64 v[18:19], v[2:3], v[6:7]
	s_waitcnt vmcnt(5)
	v_mul_f64 v[26:27], v[54:55], v[14:15]
	v_mul_f64 v[14:15], v[52:53], v[14:15]
	s_mul_i32 s4, s5, 0x500
	v_add_u32_e32 v17, s4, v17
	v_fma_f64 v[2:3], v[4:5], v[2:3], -v[24:25]
	v_mul_f64 v[6:7], v[8:9], s[0:1]
	v_mul_f64 v[8:9], v[10:11], s[0:1]
	v_fma_f64 v[0:1], v[0:1], v[4:5], v[18:19]
	v_fma_f64 v[4:5], v[52:53], v[12:13], v[26:27]
	v_fma_f64 v[10:11], v[12:13], v[54:55], -v[14:15]
	global_store_dwordx4 v[16:17], v[20:23], off
	v_add_co_u32_e32 v12, vcc, s2, v16
	v_mov_b32_e32 v20, s3
	v_mul_f64 v[2:3], v[2:3], s[0:1]
	v_mul_f64 v[0:1], v[0:1], s[0:1]
	v_addc_co_u32_e32 v13, vcc, v17, v20, vcc
	global_store_dwordx4 v[12:13], v[6:9], off
	v_mul_f64 v[4:5], v[4:5], s[0:1]
	v_mul_f64 v[6:7], v[10:11], s[0:1]
	v_mov_b32_e32 v9, s3
	v_add_co_u32_e32 v8, vcc, s2, v12
	v_addc_co_u32_e32 v9, vcc, v13, v9, vcc
	global_store_dwordx4 v[8:9], v[0:3], off
	s_nop 0
	v_mov_b32_e32 v1, s3
	v_add_co_u32_e32 v0, vcc, s2, v8
	v_addc_co_u32_e32 v1, vcc, v9, v1, vcc
	global_store_dwordx4 v[0:1], v[4:7], off
.LBB0_23:
	s_endpgm
	.section	.rodata,"a",@progbits
	.p2align	6, 0x0
	.amdhsa_kernel bluestein_single_fwd_len520_dim1_dp_op_CI_CI
		.amdhsa_group_segment_fixed_size 8320
		.amdhsa_private_segment_fixed_size 292
		.amdhsa_kernarg_size 104
		.amdhsa_user_sgpr_count 6
		.amdhsa_user_sgpr_private_segment_buffer 1
		.amdhsa_user_sgpr_dispatch_ptr 0
		.amdhsa_user_sgpr_queue_ptr 0
		.amdhsa_user_sgpr_kernarg_segment_ptr 1
		.amdhsa_user_sgpr_dispatch_id 0
		.amdhsa_user_sgpr_flat_scratch_init 0
		.amdhsa_user_sgpr_private_segment_size 0
		.amdhsa_uses_dynamic_stack 0
		.amdhsa_system_sgpr_private_segment_wavefront_offset 1
		.amdhsa_system_sgpr_workgroup_id_x 1
		.amdhsa_system_sgpr_workgroup_id_y 0
		.amdhsa_system_sgpr_workgroup_id_z 0
		.amdhsa_system_sgpr_workgroup_info 0
		.amdhsa_system_vgpr_workitem_id 0
		.amdhsa_next_free_vgpr 256
		.amdhsa_next_free_sgpr 52
		.amdhsa_reserve_vcc 1
		.amdhsa_reserve_flat_scratch 0
		.amdhsa_float_round_mode_32 0
		.amdhsa_float_round_mode_16_64 0
		.amdhsa_float_denorm_mode_32 3
		.amdhsa_float_denorm_mode_16_64 3
		.amdhsa_dx10_clamp 1
		.amdhsa_ieee_mode 1
		.amdhsa_fp16_overflow 0
		.amdhsa_exception_fp_ieee_invalid_op 0
		.amdhsa_exception_fp_denorm_src 0
		.amdhsa_exception_fp_ieee_div_zero 0
		.amdhsa_exception_fp_ieee_overflow 0
		.amdhsa_exception_fp_ieee_underflow 0
		.amdhsa_exception_fp_ieee_inexact 0
		.amdhsa_exception_int_div_zero 0
	.end_amdhsa_kernel
	.text
.Lfunc_end0:
	.size	bluestein_single_fwd_len520_dim1_dp_op_CI_CI, .Lfunc_end0-bluestein_single_fwd_len520_dim1_dp_op_CI_CI
                                        ; -- End function
	.section	.AMDGPU.csdata,"",@progbits
; Kernel info:
; codeLenInByte = 18776
; NumSgprs: 56
; NumVgprs: 256
; ScratchSize: 292
; MemoryBound: 0
; FloatMode: 240
; IeeeMode: 1
; LDSByteSize: 8320 bytes/workgroup (compile time only)
; SGPRBlocks: 6
; VGPRBlocks: 63
; NumSGPRsForWavesPerEU: 56
; NumVGPRsForWavesPerEU: 256
; Occupancy: 1
; WaveLimiterHint : 1
; COMPUTE_PGM_RSRC2:SCRATCH_EN: 1
; COMPUTE_PGM_RSRC2:USER_SGPR: 6
; COMPUTE_PGM_RSRC2:TRAP_HANDLER: 0
; COMPUTE_PGM_RSRC2:TGID_X_EN: 1
; COMPUTE_PGM_RSRC2:TGID_Y_EN: 0
; COMPUTE_PGM_RSRC2:TGID_Z_EN: 0
; COMPUTE_PGM_RSRC2:TIDIG_COMP_CNT: 0
	.type	__hip_cuid_d71714c52f450874,@object ; @__hip_cuid_d71714c52f450874
	.section	.bss,"aw",@nobits
	.globl	__hip_cuid_d71714c52f450874
__hip_cuid_d71714c52f450874:
	.byte	0                               ; 0x0
	.size	__hip_cuid_d71714c52f450874, 1

	.ident	"AMD clang version 19.0.0git (https://github.com/RadeonOpenCompute/llvm-project roc-6.4.0 25133 c7fe45cf4b819c5991fe208aaa96edf142730f1d)"
	.section	".note.GNU-stack","",@progbits
	.addrsig
	.addrsig_sym __hip_cuid_d71714c52f450874
	.amdgpu_metadata
---
amdhsa.kernels:
  - .args:
      - .actual_access:  read_only
        .address_space:  global
        .offset:         0
        .size:           8
        .value_kind:     global_buffer
      - .actual_access:  read_only
        .address_space:  global
        .offset:         8
        .size:           8
        .value_kind:     global_buffer
      - .actual_access:  read_only
        .address_space:  global
        .offset:         16
        .size:           8
        .value_kind:     global_buffer
      - .actual_access:  read_only
        .address_space:  global
        .offset:         24
        .size:           8
        .value_kind:     global_buffer
      - .actual_access:  read_only
        .address_space:  global
        .offset:         32
        .size:           8
        .value_kind:     global_buffer
      - .offset:         40
        .size:           8
        .value_kind:     by_value
      - .address_space:  global
        .offset:         48
        .size:           8
        .value_kind:     global_buffer
      - .address_space:  global
        .offset:         56
        .size:           8
        .value_kind:     global_buffer
      - .address_space:  global
        .offset:         64
        .size:           8
        .value_kind:     global_buffer
      - .address_space:  global
        .offset:         72
        .size:           8
        .value_kind:     global_buffer
      - .offset:         80
        .size:           4
        .value_kind:     by_value
      - .address_space:  global
        .offset:         88
        .size:           8
        .value_kind:     global_buffer
      - .address_space:  global
        .offset:         96
        .size:           8
        .value_kind:     global_buffer
    .group_segment_fixed_size: 8320
    .kernarg_segment_align: 8
    .kernarg_segment_size: 104
    .language:       OpenCL C
    .language_version:
      - 2
      - 0
    .max_flat_workgroup_size: 52
    .name:           bluestein_single_fwd_len520_dim1_dp_op_CI_CI
    .private_segment_fixed_size: 292
    .sgpr_count:     56
    .sgpr_spill_count: 0
    .symbol:         bluestein_single_fwd_len520_dim1_dp_op_CI_CI.kd
    .uniform_work_group_size: 1
    .uses_dynamic_stack: false
    .vgpr_count:     256
    .vgpr_spill_count: 74
    .wavefront_size: 64
amdhsa.target:   amdgcn-amd-amdhsa--gfx906
amdhsa.version:
  - 1
  - 2
...

	.end_amdgpu_metadata
